;; amdgpu-corpus repo=ROCm/rocFFT kind=compiled arch=gfx950 opt=O3
	.text
	.amdgcn_target "amdgcn-amd-amdhsa--gfx950"
	.amdhsa_code_object_version 6
	.protected	fft_rtc_fwd_len1512_factors_2_2_2_3_3_3_7_wgs_63_tpt_63_halfLds_half_ip_CI_sbrr_dirReg ; -- Begin function fft_rtc_fwd_len1512_factors_2_2_2_3_3_3_7_wgs_63_tpt_63_halfLds_half_ip_CI_sbrr_dirReg
	.globl	fft_rtc_fwd_len1512_factors_2_2_2_3_3_3_7_wgs_63_tpt_63_halfLds_half_ip_CI_sbrr_dirReg
	.p2align	8
	.type	fft_rtc_fwd_len1512_factors_2_2_2_3_3_3_7_wgs_63_tpt_63_halfLds_half_ip_CI_sbrr_dirReg,@function
fft_rtc_fwd_len1512_factors_2_2_2_3_3_3_7_wgs_63_tpt_63_halfLds_half_ip_CI_sbrr_dirReg: ; @fft_rtc_fwd_len1512_factors_2_2_2_3_3_3_7_wgs_63_tpt_63_halfLds_half_ip_CI_sbrr_dirReg
; %bb.0:
	s_load_dwordx2 s[12:13], s[0:1], 0x18
	s_load_dwordx4 s[4:7], s[0:1], 0x0
	s_load_dwordx2 s[10:11], s[0:1], 0x50
	v_mul_u32_u24_e32 v1, 0x411, v0
	v_add_u32_sdwa v6, s2, v1 dst_sel:DWORD dst_unused:UNUSED_PAD src0_sel:DWORD src1_sel:WORD_1
	s_waitcnt lgkmcnt(0)
	s_load_dwordx2 s[8:9], s[12:13], 0x0
	v_mov_b32_e32 v4, 0
	v_cmp_lt_u64_e64 s[2:3], s[6:7], 2
	v_mov_b32_e32 v7, v4
	s_and_b64 vcc, exec, s[2:3]
	v_mov_b64_e32 v[2:3], 0
	s_cbranch_vccnz .LBB0_8
; %bb.1:
	s_load_dwordx2 s[2:3], s[0:1], 0x10
	s_add_u32 s14, s12, 8
	s_addc_u32 s15, s13, 0
	s_mov_b64 s[16:17], 1
	v_mov_b64_e32 v[2:3], 0
	s_waitcnt lgkmcnt(0)
	s_add_u32 s18, s2, 8
	s_addc_u32 s19, s3, 0
.LBB0_2:                                ; =>This Inner Loop Header: Depth=1
	s_load_dwordx2 s[20:21], s[18:19], 0x0
                                        ; implicit-def: $vgpr8_vgpr9
	s_waitcnt lgkmcnt(0)
	v_or_b32_e32 v5, s21, v7
	v_cmp_ne_u64_e32 vcc, 0, v[4:5]
	s_and_saveexec_b64 s[2:3], vcc
	s_xor_b64 s[22:23], exec, s[2:3]
	s_cbranch_execz .LBB0_4
; %bb.3:                                ;   in Loop: Header=BB0_2 Depth=1
	v_cvt_f32_u32_e32 v1, s20
	v_cvt_f32_u32_e32 v5, s21
	s_sub_u32 s2, 0, s20
	s_subb_u32 s3, 0, s21
	v_fmac_f32_e32 v1, 0x4f800000, v5
	v_rcp_f32_e32 v1, v1
	s_nop 0
	v_mul_f32_e32 v1, 0x5f7ffffc, v1
	v_mul_f32_e32 v5, 0x2f800000, v1
	v_trunc_f32_e32 v5, v5
	v_fmac_f32_e32 v1, 0xcf800000, v5
	v_cvt_u32_f32_e32 v5, v5
	v_cvt_u32_f32_e32 v1, v1
	v_mul_lo_u32 v8, s2, v5
	v_mul_hi_u32 v10, s2, v1
	v_mul_lo_u32 v9, s3, v1
	v_add_u32_e32 v10, v10, v8
	v_mul_lo_u32 v12, s2, v1
	v_add_u32_e32 v13, v10, v9
	v_mul_hi_u32 v8, v1, v12
	v_mul_hi_u32 v11, v1, v13
	v_mul_lo_u32 v10, v1, v13
	v_mov_b32_e32 v9, v4
	v_lshl_add_u64 v[8:9], v[8:9], 0, v[10:11]
	v_mul_hi_u32 v11, v5, v12
	v_mul_lo_u32 v12, v5, v12
	v_add_co_u32_e32 v8, vcc, v8, v12
	v_mul_hi_u32 v10, v5, v13
	s_nop 0
	v_addc_co_u32_e32 v8, vcc, v9, v11, vcc
	v_mov_b32_e32 v9, v4
	s_nop 0
	v_addc_co_u32_e32 v11, vcc, 0, v10, vcc
	v_mul_lo_u32 v10, v5, v13
	v_lshl_add_u64 v[8:9], v[8:9], 0, v[10:11]
	v_add_co_u32_e32 v1, vcc, v1, v8
	v_mul_lo_u32 v10, s2, v1
	s_nop 0
	v_addc_co_u32_e32 v5, vcc, v5, v9, vcc
	v_mul_lo_u32 v8, s2, v5
	v_mul_hi_u32 v9, s2, v1
	v_add_u32_e32 v8, v9, v8
	v_mul_lo_u32 v9, s3, v1
	v_add_u32_e32 v12, v8, v9
	v_mul_hi_u32 v14, v5, v10
	v_mul_lo_u32 v15, v5, v10
	v_mul_hi_u32 v9, v1, v12
	v_mul_lo_u32 v8, v1, v12
	v_mul_hi_u32 v10, v1, v10
	v_mov_b32_e32 v11, v4
	v_lshl_add_u64 v[8:9], v[10:11], 0, v[8:9]
	v_add_co_u32_e32 v8, vcc, v8, v15
	v_mul_hi_u32 v13, v5, v12
	s_nop 0
	v_addc_co_u32_e32 v8, vcc, v9, v14, vcc
	v_mul_lo_u32 v10, v5, v12
	s_nop 0
	v_addc_co_u32_e32 v11, vcc, 0, v13, vcc
	v_mov_b32_e32 v9, v4
	v_lshl_add_u64 v[8:9], v[8:9], 0, v[10:11]
	v_add_co_u32_e32 v1, vcc, v1, v8
	v_mul_hi_u32 v10, v6, v1
	s_nop 0
	v_addc_co_u32_e32 v5, vcc, v5, v9, vcc
	v_mad_u64_u32 v[8:9], s[2:3], v6, v5, 0
	v_mov_b32_e32 v11, v4
	v_lshl_add_u64 v[8:9], v[10:11], 0, v[8:9]
	v_mad_u64_u32 v[12:13], s[2:3], v7, v1, 0
	v_add_co_u32_e32 v1, vcc, v8, v12
	v_mad_u64_u32 v[10:11], s[2:3], v7, v5, 0
	s_nop 0
	v_addc_co_u32_e32 v8, vcc, v9, v13, vcc
	v_mov_b32_e32 v9, v4
	s_nop 0
	v_addc_co_u32_e32 v11, vcc, 0, v11, vcc
	v_lshl_add_u64 v[8:9], v[8:9], 0, v[10:11]
	v_mul_lo_u32 v1, s21, v8
	v_mul_lo_u32 v5, s20, v9
	v_mad_u64_u32 v[10:11], s[2:3], s20, v8, 0
	v_add3_u32 v1, v11, v5, v1
	v_sub_u32_e32 v5, v7, v1
	v_mov_b32_e32 v11, s21
	v_sub_co_u32_e32 v14, vcc, v6, v10
	v_lshl_add_u64 v[12:13], v[8:9], 0, 1
	s_nop 0
	v_subb_co_u32_e64 v5, s[2:3], v5, v11, vcc
	v_subrev_co_u32_e64 v10, s[2:3], s20, v14
	v_subb_co_u32_e32 v1, vcc, v7, v1, vcc
	s_nop 0
	v_subbrev_co_u32_e64 v5, s[2:3], 0, v5, s[2:3]
	v_cmp_le_u32_e64 s[2:3], s21, v5
	v_cmp_le_u32_e32 vcc, s21, v1
	s_nop 0
	v_cndmask_b32_e64 v11, 0, -1, s[2:3]
	v_cmp_le_u32_e64 s[2:3], s20, v10
	s_nop 1
	v_cndmask_b32_e64 v10, 0, -1, s[2:3]
	v_cmp_eq_u32_e64 s[2:3], s21, v5
	s_nop 1
	v_cndmask_b32_e64 v5, v11, v10, s[2:3]
	v_lshl_add_u64 v[10:11], v[8:9], 0, 2
	v_cmp_ne_u32_e64 s[2:3], 0, v5
	s_nop 1
	v_cndmask_b32_e64 v5, v13, v11, s[2:3]
	v_cndmask_b32_e64 v11, 0, -1, vcc
	v_cmp_le_u32_e32 vcc, s20, v14
	s_nop 1
	v_cndmask_b32_e64 v13, 0, -1, vcc
	v_cmp_eq_u32_e32 vcc, s21, v1
	s_nop 1
	v_cndmask_b32_e32 v1, v11, v13, vcc
	v_cmp_ne_u32_e32 vcc, 0, v1
	v_cndmask_b32_e64 v1, v12, v10, s[2:3]
	s_nop 0
	v_cndmask_b32_e32 v9, v9, v5, vcc
	v_cndmask_b32_e32 v8, v8, v1, vcc
.LBB0_4:                                ;   in Loop: Header=BB0_2 Depth=1
	s_andn2_saveexec_b64 s[2:3], s[22:23]
	s_cbranch_execz .LBB0_6
; %bb.5:                                ;   in Loop: Header=BB0_2 Depth=1
	v_cvt_f32_u32_e32 v1, s20
	s_sub_i32 s22, 0, s20
	v_rcp_iflag_f32_e32 v1, v1
	s_nop 0
	v_mul_f32_e32 v1, 0x4f7ffffe, v1
	v_cvt_u32_f32_e32 v1, v1
	v_mul_lo_u32 v5, s22, v1
	v_mul_hi_u32 v5, v1, v5
	v_add_u32_e32 v1, v1, v5
	v_mul_hi_u32 v1, v6, v1
	v_mul_lo_u32 v5, v1, s20
	v_sub_u32_e32 v5, v6, v5
	v_add_u32_e32 v8, 1, v1
	v_subrev_u32_e32 v9, s20, v5
	v_cmp_le_u32_e32 vcc, s20, v5
	s_nop 1
	v_cndmask_b32_e32 v5, v5, v9, vcc
	v_cndmask_b32_e32 v1, v1, v8, vcc
	v_add_u32_e32 v8, 1, v1
	v_cmp_le_u32_e32 vcc, s20, v5
	v_mov_b32_e32 v9, v4
	s_nop 0
	v_cndmask_b32_e32 v8, v1, v8, vcc
.LBB0_6:                                ;   in Loop: Header=BB0_2 Depth=1
	s_or_b64 exec, exec, s[2:3]
	v_mad_u64_u32 v[10:11], s[2:3], v8, s20, 0
	s_load_dwordx2 s[2:3], s[14:15], 0x0
	v_mul_lo_u32 v1, v9, s20
	v_mul_lo_u32 v5, v8, s21
	v_add3_u32 v1, v11, v5, v1
	v_sub_co_u32_e32 v5, vcc, v6, v10
	s_add_u32 s16, s16, 1
	s_nop 0
	v_subb_co_u32_e32 v1, vcc, v7, v1, vcc
	s_addc_u32 s17, s17, 0
	s_waitcnt lgkmcnt(0)
	v_mul_lo_u32 v1, s2, v1
	v_mul_lo_u32 v6, s3, v5
	v_mad_u64_u32 v[2:3], s[2:3], s2, v5, v[2:3]
	s_add_u32 s14, s14, 8
	v_add3_u32 v3, v6, v3, v1
	s_addc_u32 s15, s15, 0
	v_mov_b64_e32 v[6:7], s[6:7]
	s_add_u32 s18, s18, 8
	v_cmp_ge_u64_e32 vcc, s[16:17], v[6:7]
	s_addc_u32 s19, s19, 0
	s_cbranch_vccnz .LBB0_9
; %bb.7:                                ;   in Loop: Header=BB0_2 Depth=1
	v_mov_b64_e32 v[6:7], v[8:9]
	s_branch .LBB0_2
.LBB0_8:
	v_mov_b64_e32 v[8:9], v[6:7]
.LBB0_9:
	s_lshl_b64 s[2:3], s[6:7], 3
	s_add_u32 s2, s12, s2
	s_addc_u32 s3, s13, s3
	s_load_dwordx2 s[6:7], s[2:3], 0x0
	s_load_dwordx2 s[12:13], s[0:1], 0x20
	s_mov_b32 s2, 0x4104105
                                        ; implicit-def: $vgpr28
                                        ; implicit-def: $vgpr27
                                        ; implicit-def: $vgpr25
                                        ; implicit-def: $vgpr11
                                        ; implicit-def: $vgpr10
	s_waitcnt lgkmcnt(0)
	v_mul_lo_u32 v1, s6, v9
	v_mul_lo_u32 v4, s7, v8
	v_mad_u64_u32 v[6:7], s[0:1], s6, v8, v[2:3]
	v_add3_u32 v7, v4, v7, v1
	v_mul_hi_u32 v1, v0, s2
	v_mul_u32_u24_e32 v1, 63, v1
	v_sub_u32_e32 v24, v0, v1
	v_cmp_gt_u64_e32 vcc, s[12:13], v[8:9]
	v_cmp_le_u64_e64 s[0:1], s[12:13], v[8:9]
	v_add_u32_e32 v26, 63, v24
                                        ; implicit-def: $vgpr4_vgpr5
                                        ; implicit-def: $vgpr2_vgpr3
                                        ; implicit-def: $sgpr2
                                        ; implicit-def: $vgpr9
                                        ; implicit-def: $vgpr8
	s_and_saveexec_b64 s[6:7], s[0:1]
	s_xor_b64 s[0:1], exec, s[6:7]
	s_cbranch_execz .LBB0_11
; %bb.10:
	v_add_u32_e32 v28, 63, v24
	v_add_u32_e32 v27, 0x7e, v24
	v_add_u32_e32 v25, 0xbd, v24
	v_add_u32_e32 v3, 0x13b, v24
	v_add_u32_e32 v2, 0xfc, v24
	v_add_u32_e32 v5, 0x1b9, v24
	v_add_u32_e32 v4, 0x17a, v24
	v_add_u32_e32 v11, 0x1f8, v24
	v_add_u32_e32 v9, 0x237, v24
	v_add_u32_e32 v8, 0x276, v24
	v_add_u32_e32 v10, 0x2b5, v24
	s_mov_b32 s2, 0
.LBB0_11:
	s_or_saveexec_b64 s[0:1], s[0:1]
	v_mov_b32_e32 v12, s2
	v_lshl_add_u64 v[0:1], v[6:7], 2, s[10:11]
	v_mov_b32_e32 v41, s2
	v_mov_b32_e32 v40, s2
	;; [unrolled: 1-line block ×11, first 2 shown]
                                        ; implicit-def: $vgpr29
                                        ; implicit-def: $vgpr14
                                        ; implicit-def: $vgpr60
                                        ; implicit-def: $vgpr13
                                        ; implicit-def: $vgpr59
                                        ; implicit-def: $vgpr7
                                        ; implicit-def: $vgpr58
                                        ; implicit-def: $vgpr6
                                        ; implicit-def: $vgpr57
                                        ; implicit-def: $vgpr18
                                        ; implicit-def: $vgpr56
                                        ; implicit-def: $vgpr17
                                        ; implicit-def: $vgpr55
                                        ; implicit-def: $vgpr16
                                        ; implicit-def: $vgpr54
                                        ; implicit-def: $vgpr15
                                        ; implicit-def: $vgpr52
                                        ; implicit-def: $vgpr21
                                        ; implicit-def: $vgpr51
                                        ; implicit-def: $vgpr20
                                        ; implicit-def: $vgpr50
                                        ; implicit-def: $vgpr19
                                        ; implicit-def: $vgpr49
                                        ; implicit-def: $vgpr22
	s_xor_b64 exec, exec, s[0:1]
	s_cbranch_execz .LBB0_13
; %bb.12:
	v_mad_u64_u32 v[2:3], s[2:3], s8, v24, 0
	v_mov_b32_e32 v4, v3
	v_mad_u64_u32 v[4:5], s[2:3], s9, v24, v[4:5]
	v_add_u32_e32 v7, 0x2f4, v24
	v_mov_b32_e32 v3, v4
	v_mad_u64_u32 v[4:5], s[2:3], s8, v7, 0
	v_mov_b32_e32 v6, v5
	v_mad_u64_u32 v[6:7], s[2:3], s9, v7, v[6:7]
	;; [unrolled: 2-line block ×4, first 2 shown]
	v_mov_b32_e32 v7, v8
	v_add_u32_e32 v11, 0x333, v24
	v_lshl_add_u64 v[8:9], v[6:7], 2, v[0:1]
	v_mad_u64_u32 v[6:7], s[2:3], s8, v11, 0
	v_mov_b32_e32 v10, v7
	v_mad_u64_u32 v[10:11], s[2:3], s9, v11, v[10:11]
	v_mov_b32_e32 v7, v10
	v_add_u32_e32 v27, 0x7e, v24
	v_lshl_add_u64 v[10:11], v[6:7], 2, v[0:1]
	v_mad_u64_u32 v[6:7], s[2:3], s8, v27, 0
	v_mov_b32_e32 v12, v7
	v_mad_u64_u32 v[12:13], s[2:3], s9, v27, v[12:13]
	v_mov_b32_e32 v7, v12
	v_add_u32_e32 v13, 0x372, v24
	v_lshl_add_u64 v[16:17], v[6:7], 2, v[0:1]
	v_mad_u64_u32 v[6:7], s[2:3], s8, v13, 0
	v_mov_b32_e32 v12, v7
	v_mad_u64_u32 v[12:13], s[2:3], s9, v13, v[12:13]
	v_mov_b32_e32 v7, v12
	v_add_u32_e32 v25, 0xbd, v24
	v_lshl_add_u64 v[18:19], v[6:7], 2, v[0:1]
	v_mad_u64_u32 v[6:7], s[2:3], s8, v25, 0
	v_mov_b32_e32 v12, v7
	v_mad_u64_u32 v[12:13], s[2:3], s9, v25, v[12:13]
	v_mov_b32_e32 v7, v12
	v_add_u32_e32 v13, 0x3b1, v24
	v_lshl_add_u64 v[20:21], v[6:7], 2, v[0:1]
	v_mad_u64_u32 v[6:7], s[2:3], s8, v13, 0
	v_mov_b32_e32 v12, v7
	v_mad_u64_u32 v[12:13], s[2:3], s9, v13, v[12:13]
	v_lshl_add_u64 v[2:3], v[2:3], 2, v[0:1]
	v_mov_b32_e32 v7, v12
	v_lshl_add_u64 v[4:5], v[4:5], 2, v[0:1]
	v_lshl_add_u64 v[28:29], v[6:7], 2, v[0:1]
	global_load_dword v12, v[2:3], off
	global_load_dword v14, v[4:5], off
	;; [unrolled: 1-line block ×8, first 2 shown]
	v_add_u32_e32 v2, 0xfc, v24
	v_mad_u64_u32 v[4:5], s[2:3], s8, v2, 0
	v_mov_b32_e32 v8, v5
	v_mad_u64_u32 v[8:9], s[2:3], s9, v2, v[8:9]
	v_mov_b32_e32 v5, v8
	v_add_u32_e32 v11, 0x3f0, v24
	v_lshl_add_u64 v[8:9], v[4:5], 2, v[0:1]
	v_mad_u64_u32 v[4:5], s[2:3], s8, v11, 0
	v_mov_b32_e32 v10, v5
	v_mad_u64_u32 v[10:11], s[2:3], s9, v11, v[10:11]
	v_add_u32_e32 v3, 0x13b, v24
	v_mov_b32_e32 v5, v10
	v_lshl_add_u64 v[10:11], v[4:5], 2, v[0:1]
	v_mad_u64_u32 v[4:5], s[2:3], s8, v3, 0
	v_mov_b32_e32 v16, v5
	v_mad_u64_u32 v[16:17], s[2:3], s9, v3, v[16:17]
	v_mov_b32_e32 v5, v16
	v_add_u32_e32 v15, 0x42f, v24
	v_lshl_add_u64 v[20:21], v[4:5], 2, v[0:1]
	v_mad_u64_u32 v[4:5], s[2:3], s8, v15, 0
	v_mov_b32_e32 v16, v5
	v_mad_u64_u32 v[16:17], s[2:3], s9, v15, v[16:17]
	v_mov_b32_e32 v5, v16
	v_lshl_add_u64 v[28:29], v[4:5], 2, v[0:1]
	v_add_u32_e32 v4, 0x17a, v24
	v_mad_u64_u32 v[16:17], s[2:3], s8, v4, 0
	v_mov_b32_e32 v18, v17
	v_mad_u64_u32 v[18:19], s[2:3], s9, v4, v[18:19]
	v_mov_b32_e32 v17, v18
	v_add_u32_e32 v15, 0x46e, v24
	v_lshl_add_u64 v[30:31], v[16:17], 2, v[0:1]
	v_mad_u64_u32 v[16:17], s[2:3], s8, v15, 0
	v_mov_b32_e32 v18, v17
	v_mad_u64_u32 v[18:19], s[2:3], s9, v15, v[18:19]
	v_add_u32_e32 v5, 0x1b9, v24
	v_mov_b32_e32 v17, v18
	v_lshl_add_u64 v[32:33], v[16:17], 2, v[0:1]
	v_mad_u64_u32 v[16:17], s[2:3], s8, v5, 0
	v_mov_b32_e32 v18, v17
	v_mad_u64_u32 v[18:19], s[2:3], s9, v5, v[18:19]
	v_mov_b32_e32 v17, v18
	v_add_u32_e32 v15, 0x4ad, v24
	v_lshl_add_u64 v[34:35], v[16:17], 2, v[0:1]
	v_mad_u64_u32 v[16:17], s[2:3], s8, v15, 0
	v_mov_b32_e32 v18, v17
	v_mad_u64_u32 v[18:19], s[2:3], s9, v15, v[18:19]
	v_mov_b32_e32 v17, v18
	v_lshl_add_u64 v[36:37], v[16:17], 2, v[0:1]
	global_load_dword v45, v[8:9], off
	global_load_dword v18, v[10:11], off
	;; [unrolled: 1-line block ×8, first 2 shown]
	v_add_u32_e32 v11, 0x1f8, v24
	v_mad_u64_u32 v[8:9], s[2:3], s8, v11, 0
	v_mov_b32_e32 v10, v9
	v_mad_u64_u32 v[20:21], s[2:3], s9, v11, v[10:11]
	v_mov_b32_e32 v9, v20
	v_add_u32_e32 v19, 0x4ec, v24
	v_lshl_add_u64 v[28:29], v[8:9], 2, v[0:1]
	v_mad_u64_u32 v[8:9], s[2:3], s8, v19, 0
	v_mov_b32_e32 v10, v9
	v_mad_u64_u32 v[20:21], s[2:3], s9, v19, v[10:11]
	v_mov_b32_e32 v9, v20
	v_lshl_add_u64 v[30:31], v[8:9], 2, v[0:1]
	v_add_u32_e32 v9, 0x237, v24
	v_mad_u64_u32 v[20:21], s[2:3], s8, v9, 0
	v_mov_b32_e32 v8, v21
	v_mad_u64_u32 v[32:33], s[2:3], s9, v9, v[8:9]
	v_mov_b32_e32 v21, v32
	v_add_u32_e32 v10, 0x52b, v24
	v_lshl_add_u64 v[32:33], v[20:21], 2, v[0:1]
	v_mad_u64_u32 v[20:21], s[2:3], s8, v10, 0
	v_mov_b32_e32 v8, v21
	v_mad_u64_u32 v[34:35], s[2:3], s9, v10, v[8:9]
	v_mov_b32_e32 v21, v34
	v_add_u32_e32 v8, 0x276, v24
	v_lshl_add_u64 v[34:35], v[20:21], 2, v[0:1]
	;; [unrolled: 6-line block ×4, first 2 shown]
	global_load_dword v48, v[28:29], off
	global_load_dword v21, v[30:31], off
	;; [unrolled: 1-line block ×6, first 2 shown]
	v_mad_u64_u32 v[28:29], s[2:3], s8, v10, 0
	v_mov_b32_e32 v22, v29
	s_waitcnt vmcnt(15)
	v_mad_u64_u32 v[30:31], s[2:3], s9, v10, v[22:23]
	v_add_u32_e32 v32, 0x5a9, v24
	v_mov_b32_e32 v29, v30
	v_mad_u64_u32 v[30:31], s[2:3], s8, v32, 0
	v_mov_b32_e32 v22, v31
	v_mad_u64_u32 v[32:33], s[2:3], s9, v32, v[22:23]
	v_mov_b32_e32 v31, v32
	v_lshl_add_u64 v[30:31], v[30:31], 2, v[0:1]
	global_load_dword v22, v[30:31], off
	v_lshl_add_u64 v[28:29], v[28:29], 2, v[0:1]
	global_load_dword v53, v[28:29], off
	v_lshrrev_b32_e32 v29, 16, v14
	v_lshrrev_b32_e32 v60, 16, v13
	;; [unrolled: 1-line block ×3, first 2 shown]
	s_waitcnt vmcnt(16)
	v_lshrrev_b32_e32 v58, 16, v6
	v_mov_b32_e32 v28, v26
	s_waitcnt vmcnt(14)
	v_lshrrev_b32_e32 v57, 16, v18
	s_waitcnt vmcnt(12)
	v_lshrrev_b32_e32 v56, 16, v17
	;; [unrolled: 2-line block ×8, first 2 shown]
.LBB0_13:
	s_or_b64 exec, exec, s[0:1]
	v_sub_f16_e32 v14, v12, v14
	v_lshrrev_b32_e32 v30, 16, v12
	v_fma_f16 v12, v12, 2.0, -v14
	v_sub_f16_e32 v13, v41, v13
	v_sub_f16_e32 v7, v40, v7
	v_fma_f16 v31, v41, 2.0, -v13
	v_fma_f16 v32, v40, 2.0, -v7
	v_sub_f16_e32 v33, v23, v6
	v_pack_b32_f16 v6, v12, v14
	v_lshl_add_u32 v67, v24, 2, 0
	v_fma_f16 v34, v23, 2.0, -v33
	v_sub_f16_e32 v35, v45, v18
	ds_write_b32 v67, v6
	v_lshl_add_u32 v68, v28, 2, 0
	v_pack_b32_f16 v6, v31, v13
	v_pack_b32_f16 v7, v32, v7
	v_lshl_add_u32 v69, v27, 2, 0
	v_fma_f16 v36, v45, 2.0, -v35
	v_sub_f16_e32 v17, v44, v17
	ds_write_b32 v68, v6
	ds_write_b32 v69, v7
	v_pack_b32_f16 v7, v34, v33
	v_lshl_add_u32 v32, v25, 2, 0
	v_fma_f16 v37, v44, 2.0, -v17
	v_sub_f16_e32 v16, v43, v16
	ds_write_b32 v32, v7
	v_pack_b32_f16 v7, v36, v35
	v_lshl_add_u32 v70, v2, 2, 0
	v_fma_f16 v38, v43, 2.0, -v16
	v_sub_f16_e32 v39, v42, v15
	ds_write_b32 v70, v7
	v_pack_b32_f16 v7, v37, v17
	v_lshl_add_u32 v71, v3, 2, 0
	v_fma_f16 v61, v42, 2.0, -v39
	v_sub_f16_e32 v21, v48, v21
	ds_write_b32 v71, v7
	v_pack_b32_f16 v7, v38, v16
	v_lshl_add_u32 v72, v4, 2, 0
	v_fma_f16 v62, v48, 2.0, -v21
	v_sub_f16_e32 v20, v47, v20
	ds_write_b32 v72, v7
	v_pack_b32_f16 v7, v61, v39
	v_lshl_add_u32 v61, v5, 2, 0
	v_fma_f16 v63, v47, 2.0, -v20
	v_sub_f16_e32 v64, v46, v19
	ds_write_b32 v61, v7
	v_pack_b32_f16 v7, v62, v21
	v_lshl_add_u32 v62, v11, 2, 0
	v_fma_f16 v65, v46, 2.0, -v64
	s_waitcnt vmcnt(0)
	v_sub_f16_e32 v22, v53, v22
	ds_write_b32 v62, v7
	v_pack_b32_f16 v7, v63, v20
	v_lshl_add_u32 v63, v9, 2, 0
	v_lshrrev_b32_e32 v41, 16, v41
	v_sub_f16_e32 v29, v30, v29
	v_fma_f16 v66, v53, 2.0, -v22
	ds_write_b32 v63, v7
	v_pack_b32_f16 v7, v65, v64
	v_lshl_add_u32 v64, v8, 2, 0
	v_sub_f16_e32 v60, v41, v60
	v_fma_f16 v30, v30, 2.0, -v29
	v_lshlrev_b32_e32 v6, 1, v24
	v_lshlrev_b32_e32 v33, 1, v25
	;; [unrolled: 1-line block ×3, first 2 shown]
	ds_write_b32 v64, v7
	v_pack_b32_f16 v7, v66, v22
	v_lshl_add_u32 v65, v10, 2, 0
	v_fma_f16 v41, v41, 2.0, -v60
	v_lshlrev_b32_e32 v19, 1, v28
	v_lshlrev_b32_e32 v18, 1, v27
	;; [unrolled: 1-line block ×8, first 2 shown]
	ds_write_b32 v65, v7
	v_lshlrev_b32_e32 v7, 1, v10
	v_pack_b32_f16 v66, v30, v29
	v_add_u32_e32 v29, 0, v6
	v_sub_u32_e32 v34, v32, v33
	v_sub_u32_e32 v35, v70, v14
	v_pack_b32_f16 v41, v41, v60
	v_lshrrev_b32_e32 v40, 16, v40
	s_waitcnt lgkmcnt(0)
	; wave barrier
	s_waitcnt lgkmcnt(0)
	v_add_u32_e32 v30, 0, v19
	v_add_u32_e32 v31, 0, v18
	ds_read_u16 v73, v34
	v_sub_u32_e32 v36, v71, v15
	v_sub_u32_e32 v37, v72, v16
	ds_read_u16 v74, v29
	ds_read_u16 v75, v29 offset:1512
	ds_read_u16 v76, v29 offset:1638
	;; [unrolled: 1-line block ×7, first 2 shown]
	v_sub_u32_e32 v38, v61, v17
	v_sub_u32_e32 v39, v62, v13
	;; [unrolled: 1-line block ×4, first 2 shown]
	ds_read_u16 v82, v29 offset:2394
	ds_read_u16 v83, v29 offset:2520
	ds_read_u16 v84, v29 offset:2646
	ds_read_u16 v85, v29 offset:2772
	v_sub_u32_e32 v22, v65, v7
	ds_read_u16 v86, v35
	ds_read_u16 v87, v36
	;; [unrolled: 1-line block ×10, first 2 shown]
	ds_read_u16 v96, v29 offset:2898
	s_waitcnt lgkmcnt(0)
	; wave barrier
	s_waitcnt lgkmcnt(0)
	ds_write_b32 v67, v66
	ds_write_b32 v68, v41
	v_sub_f16_e32 v41, v40, v59
	v_fma_f16 v40, v40, 2.0, -v41
	v_pack_b32_f16 v40, v40, v41
	v_lshrrev_b32_e32 v23, 16, v23
	ds_write_b32 v69, v40
	v_sub_f16_e32 v40, v23, v58
	v_fma_f16 v23, v23, 2.0, -v40
	v_pack_b32_f16 v23, v23, v40
	ds_write_b32 v32, v23
	v_lshrrev_b32_e32 v23, 16, v45
	v_sub_f16_e32 v40, v23, v57
	v_fma_f16 v23, v23, 2.0, -v40
	v_pack_b32_f16 v23, v23, v40
	ds_write_b32 v70, v23
	v_lshrrev_b32_e32 v23, 16, v44
	;; [unrolled: 5-line block ×8, first 2 shown]
	v_sub_f16_e32 v40, v23, v49
	v_fma_f16 v23, v23, 2.0, -v40
	v_pack_b32_f16 v23, v23, v40
	ds_write_b32 v65, v23
	v_and_b32_e32 v23, 1, v28
	v_lshlrev_b32_e32 v40, 2, v23
	v_and_b32_e32 v41, 1, v25
	s_waitcnt lgkmcnt(0)
	; wave barrier
	s_waitcnt lgkmcnt(0)
	global_load_dword v40, v40, s[4:5]
	v_lshlrev_b32_e32 v42, 2, v41
	global_load_dword v42, v42, s[4:5]
	v_and_b32_e32 v43, 1, v3
	v_lshlrev_b32_e32 v44, 2, v43
	global_load_dword v44, v44, s[4:5]
	v_and_b32_e32 v45, 1, v5
	;; [unrolled: 3-line block ×4, first 2 shown]
	v_and_b32_e32 v49, 1, v24
	v_lshlrev_b32_e32 v52, 2, v51
	v_lshlrev_b32_e32 v50, 2, v49
	global_load_dword v53, v52, s[4:5]
	global_load_dword v54, v50, s[4:5]
	ds_read_u16 v50, v29 offset:1638
	ds_read_u16 v52, v29 offset:1764
	ds_read_u16 v55, v29 offset:1890
	ds_read_u16 v56, v29 offset:2016
	ds_read_u16 v57, v29 offset:2142
	ds_read_u16 v58, v29 offset:2268
	ds_read_u16 v59, v29 offset:1512
	s_movk_i32 s0, 0x7c
	s_movk_i32 s1, 0x2fc
	v_and_or_b32 v43, v15, s1, v43
	v_lshl_add_u32 v43, v43, 1, 0
	v_and_b32_e32 v9, 3, v9
	v_and_b32_e32 v8, 3, v8
	;; [unrolled: 1-line block ×3, first 2 shown]
	s_movk_i32 s1, 0x2f8
	s_movk_i32 s6, 0x3aee
	s_mov_b32 s7, 0xbaee
	s_waitcnt vmcnt(6) lgkmcnt(6)
	v_mul_f16_sdwa v60, v50, v40 dst_sel:DWORD dst_unused:UNUSED_PAD src0_sel:DWORD src1_sel:WORD_1
	v_mul_f16_sdwa v61, v76, v40 dst_sel:DWORD dst_unused:UNUSED_PAD src0_sel:DWORD src1_sel:WORD_1
	v_fma_f16 v60, v76, v40, -v60
	v_fma_f16 v40, v50, v40, v61
	s_waitcnt vmcnt(5) lgkmcnt(4)
	v_mul_f16_sdwa v50, v55, v42 dst_sel:DWORD dst_unused:UNUSED_PAD src0_sel:DWORD src1_sel:WORD_1
	v_mul_f16_sdwa v61, v78, v42 dst_sel:DWORD dst_unused:UNUSED_PAD src0_sel:DWORD src1_sel:WORD_1
	v_fma_f16 v50, v78, v42, -v50
	v_fma_f16 v42, v55, v42, v61
	;; [unrolled: 5-line block ×3, first 2 shown]
	ds_read_u16 v57, v34
	ds_read_u16 v61, v29 offset:2394
	ds_read_u16 v62, v29 offset:2520
	;; [unrolled: 1-line block ×5, first 2 shown]
	ds_read_u16 v66, v31
	ds_read_u16 v67, v30
	s_waitcnt vmcnt(3) lgkmcnt(6)
	v_mul_f16_sdwa v68, v61, v46 dst_sel:DWORD dst_unused:UNUSED_PAD src0_sel:DWORD src1_sel:WORD_1
	v_mul_f16_sdwa v69, v82, v46 dst_sel:DWORD dst_unused:UNUSED_PAD src0_sel:DWORD src1_sel:WORD_1
	v_fma_f16 v68, v82, v46, -v68
	v_fma_f16 v46, v61, v46, v69
	s_waitcnt vmcnt(2) lgkmcnt(4)
	v_mul_f16_sdwa v61, v63, v48 dst_sel:DWORD dst_unused:UNUSED_PAD src0_sel:DWORD src1_sel:WORD_1
	v_mul_f16_sdwa v69, v84, v48 dst_sel:DWORD dst_unused:UNUSED_PAD src0_sel:DWORD src1_sel:WORD_1
	v_fma_f16 v61, v84, v48, -v61
	v_fma_f16 v48, v63, v48, v69
	s_waitcnt vmcnt(0)
	v_mul_f16_sdwa v69, v59, v54 dst_sel:DWORD dst_unused:UNUSED_PAD src0_sel:DWORD src1_sel:WORD_1
	v_mul_f16_sdwa v70, v75, v54 dst_sel:DWORD dst_unused:UNUSED_PAD src0_sel:DWORD src1_sel:WORD_1
	v_fma_f16 v69, v75, v54, -v69
	v_fma_f16 v59, v59, v54, v70
	v_mul_f16_sdwa v70, v52, v54 dst_sel:DWORD dst_unused:UNUSED_PAD src0_sel:DWORD src1_sel:WORD_1
	v_mul_f16_sdwa v71, v77, v54 dst_sel:DWORD dst_unused:UNUSED_PAD src0_sel:DWORD src1_sel:WORD_1
	v_mul_f16_sdwa v72, v79, v54 dst_sel:DWORD dst_unused:UNUSED_PAD src0_sel:DWORD src1_sel:WORD_1
	v_mul_f16_sdwa v75, v81, v54 dst_sel:DWORD dst_unused:UNUSED_PAD src0_sel:DWORD src1_sel:WORD_1
	v_mul_f16_sdwa v76, v83, v54 dst_sel:DWORD dst_unused:UNUSED_PAD src0_sel:DWORD src1_sel:WORD_1
	v_fma_f16 v70, v77, v54, -v70
	v_fma_f16 v52, v52, v54, v71
	v_mul_f16_sdwa v71, v56, v54 dst_sel:DWORD dst_unused:UNUSED_PAD src0_sel:DWORD src1_sel:WORD_1
	v_fma_f16 v56, v56, v54, v72
	v_mul_f16_sdwa v72, v58, v54 dst_sel:DWORD dst_unused:UNUSED_PAD src0_sel:DWORD src1_sel:WORD_1
	;; [unrolled: 2-line block ×3, first 2 shown]
	v_fma_f16 v62, v62, v54, v76
	s_waitcnt lgkmcnt(3)
	v_mul_f16_sdwa v76, v64, v54 dst_sel:DWORD dst_unused:UNUSED_PAD src0_sel:DWORD src1_sel:WORD_1
	v_mul_f16_sdwa v77, v85, v54 dst_sel:DWORD dst_unused:UNUSED_PAD src0_sel:DWORD src1_sel:WORD_1
	v_fma_f16 v71, v79, v54, -v71
	v_fma_f16 v72, v81, v54, -v72
	;; [unrolled: 1-line block ×4, first 2 shown]
	v_fma_f16 v54, v64, v54, v77
	s_waitcnt lgkmcnt(2)
	v_mul_f16_sdwa v64, v65, v53 dst_sel:DWORD dst_unused:UNUSED_PAD src0_sel:DWORD src1_sel:WORD_1
	v_mul_f16_sdwa v77, v96, v53 dst_sel:DWORD dst_unused:UNUSED_PAD src0_sel:DWORD src1_sel:WORD_1
	v_fma_f16 v64, v96, v53, -v64
	v_fma_f16 v53, v65, v53, v77
	v_sub_f16_e32 v65, v74, v69
	v_and_or_b32 v84, v6, s0, v49
	s_movk_i32 s0, 0xfc
	v_fma_f16 v69, v74, 2.0, -v65
	v_lshl_add_u32 v84, v84, 1, 0
	v_sub_f16_e32 v60, v95, v60
	v_and_or_b32 v23, v19, s0, v23
	ds_read_u16 v63, v29
	ds_read_u16 v74, v35
	;; [unrolled: 1-line block ×9, first 2 shown]
	s_waitcnt lgkmcnt(0)
	; wave barrier
	s_waitcnt lgkmcnt(0)
	ds_write_b16 v84, v69
	ds_write_b16 v84, v65 offset:4
	v_fma_f16 v65, v95, 2.0, -v60
	v_lshl_add_u32 v23, v23, 1, 0
	s_movk_i32 s0, 0x1fc
	ds_write_b16 v23, v65
	ds_write_b16 v23, v60 offset:4
	v_sub_f16_e32 v60, v94, v70
	v_and_or_b32 v69, v18, s0, v49
	v_fma_f16 v65, v94, 2.0, -v60
	v_lshl_add_u32 v69, v69, 1, 0
	v_sub_f16_e32 v50, v73, v50
	v_and_or_b32 v41, v33, s0, v41
	ds_write_b16 v69, v65
	ds_write_b16 v69, v60 offset:4
	v_fma_f16 v60, v73, 2.0, -v50
	v_lshl_add_u32 v41, v41, 1, 0
	s_movk_i32 s0, 0x3fc
	ds_write_b16 v41, v60
	ds_write_b16 v41, v50 offset:4
	v_sub_f16_e32 v50, v86, v71
	v_and_or_b32 v65, v14, s0, v49
	v_fma_f16 v60, v86, 2.0, -v50
	v_lshl_add_u32 v65, v65, 1, 0
	ds_write_b16 v65, v60
	ds_write_b16 v65, v50 offset:4
	v_sub_f16_e32 v50, v87, v55
	v_fma_f16 v55, v87, 2.0, -v50
	ds_write_b16 v43, v55
	ds_write_b16 v43, v50 offset:4
	v_sub_f16_e32 v50, v88, v72
	v_and_or_b32 v60, v16, s0, v49
	v_fma_f16 v55, v88, 2.0, -v50
	v_lshl_add_u32 v60, v60, 1, 0
	ds_write_b16 v60, v55
	ds_write_b16 v60, v50 offset:4
	v_sub_f16_e32 v50, v89, v68
	v_and_or_b32 v45, v17, s0, v45
	v_fma_f16 v55, v89, 2.0, -v50
	v_lshl_add_u32 v45, v45, 1, 0
	s_movk_i32 s0, 0x7fc
	ds_write_b16 v45, v55
	ds_write_b16 v45, v50 offset:4
	v_sub_f16_e32 v50, v90, v75
	v_and_or_b32 v68, v13, s0, v49
	v_fma_f16 v55, v90, 2.0, -v50
	v_lshl_add_u32 v68, v68, 1, 0
	s_movk_i32 s0, 0x4fc
	ds_write_b16 v68, v55
	ds_write_b16 v68, v50 offset:4
	v_sub_f16_e32 v50, v91, v61
	v_and_or_b32 v47, v12, s0, v47
	v_fma_f16 v55, v91, 2.0, -v50
	v_lshl_add_u32 v47, v47, 1, 0
	s_movk_i32 s0, 0x5fc
	ds_write_b16 v47, v55
	ds_write_b16 v47, v50 offset:4
	v_sub_f16_e32 v50, v92, v76
	v_and_or_b32 v49, v11, s0, v49
	v_fma_f16 v55, v92, 2.0, -v50
	v_lshl_add_u32 v49, v49, 1, 0
	ds_write_b16 v49, v55
	ds_write_b16 v49, v50 offset:4
	v_sub_f16_e32 v50, v93, v64
	v_and_or_b32 v51, v7, s0, v51
	v_fma_f16 v55, v93, 2.0, -v50
	v_lshl_add_u32 v51, v51, 1, 0
	ds_write_b16 v51, v55
	ds_write_b16 v51, v50 offset:4
	v_sub_f16_e32 v50, v63, v59
	v_fma_f16 v55, v63, 2.0, -v50
	v_sub_f16_e32 v40, v67, v40
	s_waitcnt lgkmcnt(0)
	; wave barrier
	s_waitcnt lgkmcnt(0)
	ds_read_u16 v59, v34
	ds_read_u16 v61, v29
	ds_read_u16 v63, v29 offset:1512
	ds_read_u16 v64, v29 offset:1638
	;; [unrolled: 1-line block ×11, first 2 shown]
	ds_read_u16 v88, v35
	ds_read_u16 v89, v36
	;; [unrolled: 1-line block ×10, first 2 shown]
	ds_read_u16 v98, v29 offset:2898
	s_waitcnt lgkmcnt(0)
	; wave barrier
	s_waitcnt lgkmcnt(0)
	ds_write_b16 v84, v55
	ds_write_b16 v84, v50 offset:4
	v_fma_f16 v50, v67, 2.0, -v40
	ds_write_b16 v23, v50
	ds_write_b16 v23, v40 offset:4
	v_sub_f16_e32 v23, v66, v52
	v_fma_f16 v40, v66, 2.0, -v23
	ds_write_b16 v69, v40
	ds_write_b16 v69, v23 offset:4
	v_sub_f16_e32 v23, v57, v42
	;; [unrolled: 4-line block ×10, first 2 shown]
	v_fma_f16 v40, v83, 2.0, -v23
	ds_write_b16 v51, v40
	ds_write_b16 v51, v23 offset:4
	v_and_b32_e32 v23, 3, v28
	v_lshlrev_b32_e32 v40, 2, v23
	s_waitcnt lgkmcnt(0)
	; wave barrier
	s_waitcnt lgkmcnt(0)
	global_load_dword v40, v40, s[4:5] offset:8
	v_and_b32_e32 v41, 3, v27
	v_lshlrev_b32_e32 v42, 2, v41
	global_load_dword v42, v42, s[4:5] offset:8
	v_and_b32_e32 v43, 3, v25
	v_lshlrev_b32_e32 v44, 2, v43
	;; [unrolled: 3-line block ×6, first 2 shown]
	v_lshlrev_b32_e32 v52, 2, v51
	global_load_dword v54, v53, s[4:5] offset:8
	global_load_dword v55, v52, s[4:5] offset:8
	v_lshlrev_b32_e32 v52, 2, v8
	global_load_dword v52, v52, s[4:5] offset:8
	v_lshlrev_b32_e32 v53, 2, v10
	global_load_dword v53, v53, s[4:5] offset:8
	ds_read_u16 v56, v29 offset:1638
	ds_read_u16 v57, v29 offset:1764
	;; [unrolled: 1-line block ×7, first 2 shown]
	s_movk_i32 s0, 0x78
	v_and_or_b32 v81, v6, s0, v51
	s_movk_i32 s0, 0xf8
	v_lshl_add_u32 v81, v81, 1, 0
	v_and_or_b32 v19, v19, s0, v23
	v_lshl_add_u32 v19, v19, 1, 0
	s_movk_i32 s0, 0x1f8
	v_and_or_b32 v18, v18, s0, v41
	v_lshl_add_u32 v18, v18, 1, 0
	v_and_or_b32 v41, v33, s0, v43
	s_movk_i32 s0, 0x3f8
	v_and_or_b32 v14, v14, s0, v51
	v_lshl_add_u32 v14, v14, 1, 0
	v_and_or_b32 v15, v15, s1, v45
	v_lshl_add_u32 v15, v15, 1, 0
	;; [unrolled: 2-line block ×4, first 2 shown]
	s_movk_i32 s0, 0x7f8
	v_and_or_b32 v13, v13, s0, v51
	s_movk_i32 s0, 0x4f8
	v_lshl_add_u32 v13, v13, 1, 0
	v_and_or_b32 v9, v12, s0, v9
	s_movk_i32 s0, 0x5f8
	v_lshl_add_u32 v9, v9, 1, 0
	v_and_or_b32 v8, v11, s0, v8
	v_lshl_add_u32 v8, v8, 1, 0
	v_and_or_b32 v7, v7, s0, v10
	v_lshl_add_u32 v10, v7, 1, 0
	s_movk_i32 s0, 0xab
	s_movk_i32 s1, 0x90
	s_waitcnt vmcnt(9) lgkmcnt(6)
	v_mul_f16_sdwa v67, v56, v40 dst_sel:DWORD dst_unused:UNUSED_PAD src0_sel:DWORD src1_sel:WORD_1
	v_fma_f16 v67, v64, v40, -v67
	v_mul_f16_sdwa v64, v64, v40 dst_sel:DWORD dst_unused:UNUSED_PAD src0_sel:DWORD src1_sel:WORD_1
	v_fma_f16 v56, v56, v40, v64
	s_waitcnt vmcnt(8) lgkmcnt(5)
	v_mul_f16_sdwa v40, v57, v42 dst_sel:DWORD dst_unused:UNUSED_PAD src0_sel:DWORD src1_sel:WORD_1
	v_mul_f16_sdwa v64, v70, v42 dst_sel:DWORD dst_unused:UNUSED_PAD src0_sel:DWORD src1_sel:WORD_1
	v_fma_f16 v40, v70, v42, -v40
	v_fma_f16 v57, v57, v42, v64
	s_waitcnt vmcnt(7) lgkmcnt(4)
	v_mul_f16_sdwa v42, v58, v44 dst_sel:DWORD dst_unused:UNUSED_PAD src0_sel:DWORD src1_sel:WORD_1
	v_mul_f16_sdwa v64, v71, v44 dst_sel:DWORD dst_unused:UNUSED_PAD src0_sel:DWORD src1_sel:WORD_1
	v_fma_f16 v42, v71, v44, -v42
	;; [unrolled: 5-line block ×4, first 2 shown]
	v_fma_f16 v48, v65, v48, v64
	ds_read_u16 v64, v34
	ds_read_u16 v65, v29 offset:2394
	ds_read_u16 v68, v29 offset:2520
	ds_read_u16 v69, v29 offset:2646
	ds_read_u16 v70, v29 offset:2772
	ds_read_u16 v71, v29 offset:2898
	ds_read_u16 v73, v31
	ds_read_u16 v74, v30
	s_waitcnt vmcnt(4) lgkmcnt(6)
	v_mul_f16_sdwa v75, v65, v50 dst_sel:DWORD dst_unused:UNUSED_PAD src0_sel:DWORD src1_sel:WORD_1
	v_fma_f16 v75, v76, v50, -v75
	v_mul_f16_sdwa v76, v76, v50 dst_sel:DWORD dst_unused:UNUSED_PAD src0_sel:DWORD src1_sel:WORD_1
	v_fma_f16 v50, v65, v50, v76
	s_waitcnt vmcnt(2)
	v_mul_f16_sdwa v76, v66, v55 dst_sel:DWORD dst_unused:UNUSED_PAD src0_sel:DWORD src1_sel:WORD_1
	v_fma_f16 v76, v63, v55, -v76
	v_mul_f16_sdwa v63, v63, v55 dst_sel:DWORD dst_unused:UNUSED_PAD src0_sel:DWORD src1_sel:WORD_1
	v_fma_f16 v63, v66, v55, v63
	v_mul_f16_sdwa v66, v60, v55 dst_sel:DWORD dst_unused:UNUSED_PAD src0_sel:DWORD src1_sel:WORD_1
	v_fma_f16 v66, v72, v55, -v66
	v_mul_f16_sdwa v72, v72, v55 dst_sel:DWORD dst_unused:UNUSED_PAD src0_sel:DWORD src1_sel:WORD_1
	v_fma_f16 v60, v60, v55, v72
	s_waitcnt lgkmcnt(5)
	v_mul_f16_sdwa v72, v68, v55 dst_sel:DWORD dst_unused:UNUSED_PAD src0_sel:DWORD src1_sel:WORD_1
	v_mul_f16_sdwa v77, v85, v55 dst_sel:DWORD dst_unused:UNUSED_PAD src0_sel:DWORD src1_sel:WORD_1
	v_fma_f16 v72, v85, v55, -v72
	v_fma_f16 v55, v68, v55, v77
	s_waitcnt lgkmcnt(4)
	v_mul_f16_sdwa v68, v69, v54 dst_sel:DWORD dst_unused:UNUSED_PAD src0_sel:DWORD src1_sel:WORD_1
	v_mul_f16_sdwa v77, v86, v54 dst_sel:DWORD dst_unused:UNUSED_PAD src0_sel:DWORD src1_sel:WORD_1
	v_fma_f16 v68, v86, v54, -v68
	v_fma_f16 v54, v69, v54, v77
	s_waitcnt vmcnt(1) lgkmcnt(3)
	v_mul_f16_sdwa v69, v70, v52 dst_sel:DWORD dst_unused:UNUSED_PAD src0_sel:DWORD src1_sel:WORD_1
	v_mul_f16_sdwa v77, v87, v52 dst_sel:DWORD dst_unused:UNUSED_PAD src0_sel:DWORD src1_sel:WORD_1
	v_fma_f16 v69, v87, v52, -v69
	v_fma_f16 v52, v70, v52, v77
	s_waitcnt vmcnt(0) lgkmcnt(2)
	v_mul_f16_sdwa v70, v71, v53 dst_sel:DWORD dst_unused:UNUSED_PAD src0_sel:DWORD src1_sel:WORD_1
	v_mul_f16_sdwa v77, v98, v53 dst_sel:DWORD dst_unused:UNUSED_PAD src0_sel:DWORD src1_sel:WORD_1
	v_fma_f16 v70, v98, v53, -v70
	v_fma_f16 v53, v71, v53, v77
	v_sub_f16_e32 v71, v61, v76
	v_fma_f16 v61, v61, 2.0, -v71
	v_sub_f16_e32 v23, v97, v67
	ds_read_u16 v65, v29
	ds_read_u16 v21, v21
	;; [unrolled: 1-line block ×9, first 2 shown]
	s_waitcnt lgkmcnt(0)
	; wave barrier
	s_waitcnt lgkmcnt(0)
	ds_write_b16 v81, v61
	ds_write_b16 v81, v71 offset:8
	v_fma_f16 v61, v97, 2.0, -v23
	ds_write_b16 v19, v61
	ds_write_b16 v19, v23 offset:8
	v_sub_f16_e32 v23, v96, v40
	v_fma_f16 v40, v96, 2.0, -v23
	ds_write_b16 v18, v40
	ds_write_b16 v18, v23 offset:8
	v_sub_f16_e32 v23, v59, v42
	v_fma_f16 v40, v59, 2.0, -v23
	v_lshl_add_u32 v59, v41, 1, 0
	ds_write_b16 v59, v40
	ds_write_b16 v59, v23 offset:8
	v_sub_f16_e32 v23, v88, v66
	v_fma_f16 v40, v88, 2.0, -v23
	ds_write_b16 v14, v40
	ds_write_b16 v14, v23 offset:8
	v_sub_f16_e32 v23, v89, v44
	v_fma_f16 v40, v89, 2.0, -v23
	;; [unrolled: 4-line block ×5, first 2 shown]
	v_sub_f16_e32 v12, v93, v68
	ds_write_b16 v13, v40
	ds_write_b16 v13, v23 offset:8
	v_fma_f16 v23, v93, 2.0, -v12
	v_sub_f16_e32 v11, v94, v69
	ds_write_b16 v9, v23
	ds_write_b16 v9, v12 offset:8
	v_fma_f16 v12, v94, 2.0, -v11
	ds_write_b16 v8, v12
	ds_write_b16 v8, v11 offset:8
	v_sub_f16_e32 v11, v65, v63
	v_sub_f16_e32 v23, v95, v70
	v_fma_f16 v12, v65, 2.0, -v11
	v_fma_f16 v40, v95, 2.0, -v23
	ds_write_b16 v10, v40
	ds_write_b16 v10, v23 offset:8
	s_waitcnt lgkmcnt(0)
	; wave barrier
	s_waitcnt lgkmcnt(0)
	ds_read_u16 v45, v30
	ds_read_u16 v44, v31
	;; [unrolled: 1-line block ×9, first 2 shown]
	ds_read_u16 v49, v29 offset:1134
	ds_read_u16 v51, v29 offset:1260
	;; [unrolled: 1-line block ×15, first 2 shown]
	s_waitcnt lgkmcnt(0)
	; wave barrier
	s_waitcnt lgkmcnt(0)
	ds_write_b16 v81, v12
	ds_write_b16 v81, v11 offset:8
	v_sub_f16_e32 v11, v74, v56
	v_fma_f16 v12, v74, 2.0, -v11
	ds_write_b16 v19, v12
	ds_write_b16 v19, v11 offset:8
	v_sub_f16_e32 v11, v73, v57
	v_fma_f16 v12, v73, 2.0, -v11
	;; [unrolled: 4-line block ×6, first 2 shown]
	ds_write_b16 v16, v12
	ds_write_b16 v16, v11 offset:8
	v_sub_f16_e32 v11, v79, v50
	v_sub_f16_e32 v16, v20, v54
	;; [unrolled: 1-line block ×3, first 2 shown]
	v_fma_f16 v12, v79, 2.0, -v11
	v_sub_f16_e32 v14, v80, v55
	v_fma_f16 v18, v20, 2.0, -v16
	v_fma_f16 v20, v21, 2.0, -v19
	v_sub_f16_e32 v21, v22, v53
	v_and_b32_e32 v48, 7, v24
	v_fma_f16 v15, v80, 2.0, -v14
	v_fma_f16 v22, v22, 2.0, -v21
	ds_write_b16 v17, v12
	ds_write_b16 v17, v11 offset:8
	ds_write_b16 v13, v15
	ds_write_b16 v13, v14 offset:8
	;; [unrolled: 2-line block ×5, first 2 shown]
	v_lshlrev_b32_e32 v8, 3, v48
	s_waitcnt lgkmcnt(0)
	; wave barrier
	s_waitcnt lgkmcnt(0)
	global_load_dwordx2 v[12:13], v8, s[4:5] offset:24
	v_and_b32_e32 v52, 7, v27
	v_and_b32_e32 v54, 7, v2
	;; [unrolled: 1-line block ×4, first 2 shown]
	v_lshlrev_b32_e32 v10, 3, v52
	global_load_dwordx2 v[10:11], v10, s[4:5] offset:24
	v_lshlrev_b32_e32 v16, 3, v54
	global_load_dwordx2 v[16:17], v16, s[4:5] offset:24
	;; [unrolled: 2-line block ×4, first 2 shown]
	v_and_b32_e32 v53, 7, v25
	v_lshlrev_b32_e32 v14, 3, v53
	global_load_dwordx2 v[14:15], v14, s[4:5] offset:24
	v_and_b32_e32 v55, 7, v3
	v_lshlrev_b32_e32 v18, 3, v55
	global_load_dwordx2 v[18:19], v18, s[4:5] offset:24
	;; [unrolled: 3-line block ×3, first 2 shown]
	ds_read_u16 v58, v39
	ds_read_u16 v62, v38
	s_waitcnt vmcnt(7) lgkmcnt(1)
	v_mul_f16_sdwa v59, v58, v12 dst_sel:DWORD dst_unused:UNUSED_PAD src0_sel:DWORD src1_sel:WORD_1
	v_fma_f16 v59, v47, v12, -v59
	v_mul_f16_sdwa v47, v47, v12 dst_sel:DWORD dst_unused:UNUSED_PAD src0_sel:DWORD src1_sel:WORD_1
	v_fma_f16 v12, v58, v12, v47
	ds_read_u16 v47, v29 offset:2016
	ds_read_u16 v58, v29 offset:2142
	;; [unrolled: 1-line block ×8, first 2 shown]
	s_waitcnt lgkmcnt(7)
	v_mul_f16_sdwa v78, v47, v13 dst_sel:DWORD dst_unused:UNUSED_PAD src0_sel:DWORD src1_sel:WORD_1
	v_fma_f16 v78, v68, v13, -v78
	v_mul_f16_sdwa v68, v68, v13 dst_sel:DWORD dst_unused:UNUSED_PAD src0_sel:DWORD src1_sel:WORD_1
	v_fma_f16 v13, v47, v13, v68
	ds_read_u16 v47, v29 offset:1134
	ds_read_u16 v68, v29 offset:1260
	;; [unrolled: 1-line block ×7, first 2 shown]
	ds_read_u16 v86, v29
	s_waitcnt vmcnt(3) lgkmcnt(7)
	v_mul_f16_sdwa v87, v47, v8 dst_sel:DWORD dst_unused:UNUSED_PAD src0_sel:DWORD src1_sel:WORD_1
	v_fma_f16 v87, v49, v8, -v87
	v_mul_f16_sdwa v49, v49, v8 dst_sel:DWORD dst_unused:UNUSED_PAD src0_sel:DWORD src1_sel:WORD_1
	v_fma_f16 v8, v47, v8, v49
	v_mul_f16_sdwa v47, v58, v9 dst_sel:DWORD dst_unused:UNUSED_PAD src0_sel:DWORD src1_sel:WORD_1
	v_fma_f16 v88, v69, v9, -v47
	v_mul_f16_sdwa v47, v69, v9 dst_sel:DWORD dst_unused:UNUSED_PAD src0_sel:DWORD src1_sel:WORD_1
	v_fma_f16 v9, v58, v9, v47
	s_waitcnt lgkmcnt(6)
	v_mul_f16_sdwa v47, v68, v10 dst_sel:DWORD dst_unused:UNUSED_PAD src0_sel:DWORD src1_sel:WORD_1
	v_fma_f16 v69, v51, v10, -v47
	v_mul_f16_sdwa v47, v51, v10 dst_sel:DWORD dst_unused:UNUSED_PAD src0_sel:DWORD src1_sel:WORD_1
	v_fma_f16 v10, v68, v10, v47
	v_mul_f16_sdwa v47, v60, v11 dst_sel:DWORD dst_unused:UNUSED_PAD src0_sel:DWORD src1_sel:WORD_1
	v_fma_f16 v68, v70, v11, -v47
	v_mul_f16_sdwa v47, v70, v11 dst_sel:DWORD dst_unused:UNUSED_PAD src0_sel:DWORD src1_sel:WORD_1
	v_fma_f16 v11, v60, v11, v47
	s_waitcnt vmcnt(2) lgkmcnt(5)
	v_mul_f16_sdwa v47, v79, v14 dst_sel:DWORD dst_unused:UNUSED_PAD src0_sel:DWORD src1_sel:WORD_1
	v_fma_f16 v70, v61, v14, -v47
	v_mul_f16_sdwa v47, v61, v14 dst_sel:DWORD dst_unused:UNUSED_PAD src0_sel:DWORD src1_sel:WORD_1
	v_fma_f16 v14, v79, v14, v47
	v_mul_f16_sdwa v47, v64, v15 dst_sel:DWORD dst_unused:UNUSED_PAD src0_sel:DWORD src1_sel:WORD_1
	v_fma_f16 v79, v71, v15, -v47
	v_mul_f16_sdwa v47, v71, v15 dst_sel:DWORD dst_unused:UNUSED_PAD src0_sel:DWORD src1_sel:WORD_1
	v_fma_f16 v15, v64, v15, v47
	s_waitcnt lgkmcnt(4)
	v_mul_f16_sdwa v47, v80, v16 dst_sel:DWORD dst_unused:UNUSED_PAD src0_sel:DWORD src1_sel:WORD_1
	v_fma_f16 v64, v63, v16, -v47
	v_mul_f16_sdwa v47, v63, v16 dst_sel:DWORD dst_unused:UNUSED_PAD src0_sel:DWORD src1_sel:WORD_1
	v_fma_f16 v16, v80, v16, v47
	v_mul_f16_sdwa v47, v73, v17 dst_sel:DWORD dst_unused:UNUSED_PAD src0_sel:DWORD src1_sel:WORD_1
	v_fma_f16 v63, v72, v17, -v47
	v_mul_f16_sdwa v47, v72, v17 dst_sel:DWORD dst_unused:UNUSED_PAD src0_sel:DWORD src1_sel:WORD_1
	v_fma_f16 v17, v73, v17, v47
	;; [unrolled: 18-line block ×3, first 2 shown]
	s_waitcnt vmcnt(0) lgkmcnt(1)
	v_mul_f16_sdwa v47, v85, v22 dst_sel:DWORD dst_unused:UNUSED_PAD src0_sel:DWORD src1_sel:WORD_1
	v_fma_f16 v73, v67, v22, -v47
	v_mul_f16_sdwa v47, v67, v22 dst_sel:DWORD dst_unused:UNUSED_PAD src0_sel:DWORD src1_sel:WORD_1
	v_fma_f16 v22, v85, v22, v47
	v_mul_f16_sdwa v47, v77, v23 dst_sel:DWORD dst_unused:UNUSED_PAD src0_sel:DWORD src1_sel:WORD_1
	v_fma_f16 v67, v83, v23, -v47
	v_mul_f16_sdwa v47, v83, v23 dst_sel:DWORD dst_unused:UNUSED_PAD src0_sel:DWORD src1_sel:WORD_1
	v_fma_f16 v23, v77, v23, v47
	v_add_f16_e32 v47, v59, v78
	v_fma_f16 v47, v47, -0.5, v46
	v_sub_f16_e32 v49, v12, v13
	v_fma_f16 v51, v49, s6, v47
	v_fma_f16 v47, v49, s7, v47
	s_waitcnt lgkmcnt(0)
	v_add_f16_e32 v49, v86, v12
	v_add_f16_e32 v12, v12, v13
	;; [unrolled: 1-line block ×3, first 2 shown]
	v_fma_f16 v12, v12, -0.5, v86
	v_add_f16_e32 v13, v46, v59
	v_sub_f16_e32 v46, v59, v78
	v_fma_f16 v75, v46, s7, v12
	v_fma_f16 v12, v46, s6, v12
	v_add_f16_e32 v46, v87, v88
	v_fma_f16 v46, v46, -0.5, v45
	v_sub_f16_e32 v49, v8, v9
	v_fma_f16 v58, v49, s6, v46
	v_fma_f16 v46, v49, s7, v46
	v_add_f16_e32 v49, v69, v68
	v_fma_f16 v49, v49, -0.5, v44
	v_sub_f16_e32 v59, v10, v11
	v_fma_f16 v60, v59, s6, v49
	v_fma_f16 v49, v59, s7, v49
	v_add_f16_e32 v59, v70, v79
	v_fma_f16 v59, v59, -0.5, v43
	v_sub_f16_e32 v61, v14, v15
	v_fma_f16 v76, v61, s6, v59
	v_fma_f16 v59, v61, s7, v59
	v_add_f16_e32 v61, v64, v63
	v_fma_f16 v61, v61, -0.5, v42
	v_sub_f16_e32 v77, v16, v17
	v_add_f16_e32 v13, v13, v78
	v_fma_f16 v78, v77, s6, v61
	v_fma_f16 v61, v77, s7, v61
	v_add_f16_e32 v77, v71, v65
	v_fma_f16 v77, v77, -0.5, v41
	v_sub_f16_e32 v80, v18, v19
	v_fma_f16 v81, v80, s6, v77
	v_fma_f16 v77, v80, s7, v77
	v_add_f16_e32 v80, v72, v66
	v_fma_f16 v80, v80, -0.5, v40
	v_sub_f16_e32 v82, v20, v21
	;; [unrolled: 5-line block ×3, first 2 shown]
	v_fma_f16 v85, v84, s6, v82
	v_fma_f16 v82, v84, s7, v82
	v_lshrrev_b32_e32 v84, 3, v24
	v_mul_u32_u24_e32 v84, 24, v84
	v_or_b32_e32 v48, v84, v48
	v_lshl_add_u32 v93, v48, 1, 0
	ds_read_u16 v84, v30
	ds_read_u16 v86, v31
	;; [unrolled: 1-line block ×6, first 2 shown]
	s_waitcnt lgkmcnt(0)
	; wave barrier
	s_waitcnt lgkmcnt(0)
	ds_write_b16 v93, v13
	ds_write_b16 v93, v51 offset:16
	ds_write_b16 v93, v47 offset:32
	v_lshrrev_b32_e32 v13, 3, v28
	v_mul_lo_u32 v13, v13, 24
	v_or_b32_e32 v13, v13, v50
	v_add_f16_e32 v45, v45, v87
	v_add_f16_e32 v45, v45, v88
	v_lshl_add_u32 v13, v13, 1, 0
	ds_write_b16 v13, v45
	ds_write_b16 v13, v58 offset:16
	ds_write_b16 v13, v46 offset:32
	v_lshrrev_b32_e32 v45, 3, v27
	v_mul_lo_u32 v45, v45, 24
	v_or_b32_e32 v45, v45, v52
	v_add_f16_e32 v44, v44, v69
	v_add_f16_e32 v44, v44, v68
	v_lshl_add_u32 v94, v45, 1, 0
	;; [unrolled: 9-line block ×7, first 2 shown]
	ds_write_b16 v40, v7
	ds_write_b16 v40, v85 offset:16
	ds_write_b16 v40, v82 offset:32
	s_waitcnt lgkmcnt(0)
	; wave barrier
	s_waitcnt lgkmcnt(0)
	ds_read_u16 v46, v30
	ds_read_u16 v45, v31
	;; [unrolled: 1-line block ×9, first 2 shown]
	ds_read_u16 v60, v29 offset:1134
	ds_read_u16 v58, v29 offset:1260
	;; [unrolled: 1-line block ×15, first 2 shown]
	s_waitcnt lgkmcnt(0)
	; wave barrier
	s_waitcnt lgkmcnt(0)
	ds_write_b16 v93, v74
	ds_write_b16 v93, v75 offset:16
	ds_write_b16 v93, v12 offset:32
	v_add_f16_e32 v12, v84, v8
	v_add_f16_e32 v8, v8, v9
	;; [unrolled: 1-line block ×3, first 2 shown]
	v_fma_f16 v8, v8, -0.5, v84
	v_sub_f16_e32 v9, v87, v88
	v_fma_f16 v74, v9, s7, v8
	v_fma_f16 v8, v9, s6, v8
	v_add_f16_e32 v9, v10, v11
	ds_write_b16 v13, v12
	ds_write_b16 v13, v74 offset:16
	ds_write_b16 v13, v8 offset:32
	v_add_f16_e32 v8, v86, v10
	v_fma_f16 v9, v9, -0.5, v86
	v_sub_f16_e32 v10, v69, v68
	v_add_f16_e32 v8, v8, v11
	v_fma_f16 v11, v10, s7, v9
	v_fma_f16 v9, v10, s6, v9
	ds_write_b16 v94, v8
	ds_write_b16 v94, v11 offset:16
	ds_write_b16 v94, v9 offset:32
	v_add_f16_e32 v9, v14, v15
	v_add_f16_e32 v8, v89, v14
	v_fma_f16 v9, v9, -0.5, v89
	v_sub_f16_e32 v10, v70, v79
	v_add_f16_e32 v8, v8, v15
	v_fma_f16 v11, v10, s7, v9
	v_fma_f16 v9, v10, s6, v9
	ds_write_b16 v95, v8
	ds_write_b16 v95, v11 offset:16
	ds_write_b16 v95, v9 offset:32
	v_add_f16_e32 v9, v16, v17
	v_fma_f16 v9, v9, -0.5, v90
	v_sub_f16_e32 v10, v64, v63
	v_add_f16_e32 v12, v18, v19
	v_add_f16_e32 v15, v20, v21
	;; [unrolled: 1-line block ×3, first 2 shown]
	v_fma_f16 v11, v10, s7, v9
	v_fma_f16 v9, v10, s6, v9
	v_add_f16_e32 v10, v91, v18
	v_fma_f16 v12, v12, -0.5, v91
	v_sub_f16_e32 v13, v71, v65
	v_fma_f16 v15, v15, -0.5, v92
	v_sub_f16_e32 v16, v72, v66
	v_add_f16_e32 v18, v22, v23
	v_add_f16_e32 v8, v8, v17
	;; [unrolled: 1-line block ×3, first 2 shown]
	v_fma_f16 v14, v13, s7, v12
	v_fma_f16 v12, v13, s6, v12
	v_add_f16_e32 v13, v92, v20
	v_fma_f16 v17, v16, s7, v15
	v_fma_f16 v15, v16, s6, v15
	v_add_f16_e32 v16, v62, v22
	v_fma_f16 v18, v18, -0.5, v62
	v_sub_f16_e32 v19, v73, v67
	v_add_f16_e32 v13, v13, v21
	v_add_f16_e32 v16, v16, v23
	v_fma_f16 v20, v19, s7, v18
	v_fma_f16 v18, v19, s6, v18
	ds_write_b16 v76, v8
	ds_write_b16 v76, v11 offset:16
	ds_write_b16 v76, v9 offset:32
	ds_write_b16 v78, v10
	ds_write_b16 v78, v14 offset:16
	ds_write_b16 v78, v12 offset:32
	;; [unrolled: 3-line block ×4, first 2 shown]
	v_mul_lo_u16_sdwa v8, v24, s0 dst_sel:DWORD dst_unused:UNUSED_PAD src0_sel:BYTE_0 src1_sel:DWORD
	v_mul_lo_u16_sdwa v12, v27, s0 dst_sel:DWORD dst_unused:UNUSED_PAD src0_sel:BYTE_0 src1_sel:DWORD
	v_lshrrev_b16_e32 v62, 12, v8
	v_lshrrev_b16_e32 v66, 12, v12
	v_mul_lo_u16_e32 v8, 24, v62
	v_mul_lo_u16_e32 v12, 24, v66
	v_sub_u16_e32 v63, v24, v8
	v_mov_b32_e32 v40, 3
	v_sub_u16_e32 v67, v27, v12
	v_lshlrev_b32_sdwa v8, v40, v63 dst_sel:DWORD dst_unused:UNUSED_PAD src0_sel:DWORD src1_sel:BYTE_0
	v_lshlrev_b32_sdwa v12, v40, v67 dst_sel:DWORD dst_unused:UNUSED_PAD src0_sel:DWORD src1_sel:BYTE_0
	s_waitcnt lgkmcnt(0)
	; wave barrier
	s_waitcnt lgkmcnt(0)
	global_load_dwordx2 v[10:11], v8, s[4:5] offset:88
	v_mul_lo_u16_sdwa v14, v25, s0 dst_sel:DWORD dst_unused:UNUSED_PAD src0_sel:BYTE_0 src1_sel:DWORD
	global_load_dwordx2 v[12:13], v12, s[4:5] offset:88
	v_mul_lo_u16_sdwa v8, v28, s0 dst_sel:DWORD dst_unused:UNUSED_PAD src0_sel:BYTE_0 src1_sel:DWORD
	v_lshrrev_b16_e32 v64, 12, v8
	v_mul_lo_u16_e32 v8, 24, v64
	v_sub_u16_e32 v65, v28, v8
	v_lshlrev_b32_sdwa v8, v40, v65 dst_sel:DWORD dst_unused:UNUSED_PAD src0_sel:DWORD src1_sel:BYTE_0
	global_load_dwordx2 v[8:9], v8, s[4:5] offset:88
	s_mov_b32 s0, 0xaaab
	v_lshrrev_b16_e32 v68, 12, v14
	v_mul_u32_u24_sdwa v16, v2, s0 dst_sel:DWORD dst_unused:UNUSED_PAD src0_sel:WORD_0 src1_sel:DWORD
	v_mul_lo_u16_e32 v14, 24, v68
	v_lshrrev_b32_e32 v70, 20, v16
	v_sub_u16_e32 v69, v25, v14
	v_mul_lo_u16_e32 v16, 24, v70
	v_lshlrev_b32_sdwa v14, v40, v69 dst_sel:DWORD dst_unused:UNUSED_PAD src0_sel:DWORD src1_sel:BYTE_0
	global_load_dwordx2 v[14:15], v14, s[4:5] offset:88
	v_sub_u16_e32 v71, v2, v16
	v_lshlrev_b32_e32 v16, 3, v71
	global_load_dwordx2 v[22:23], v16, s[4:5] offset:88
	v_mul_u32_u24_sdwa v16, v3, s0 dst_sel:DWORD dst_unused:UNUSED_PAD src0_sel:WORD_0 src1_sel:DWORD
	v_lshrrev_b32_e32 v72, 20, v16
	v_mul_lo_u16_e32 v16, 24, v72
	v_sub_u16_e32 v73, v3, v16
	v_lshlrev_b32_e32 v16, 3, v73
	global_load_dwordx2 v[20:21], v16, s[4:5] offset:88
	v_mul_u32_u24_sdwa v16, v4, s0 dst_sel:DWORD dst_unused:UNUSED_PAD src0_sel:WORD_0 src1_sel:DWORD
	v_lshrrev_b32_e32 v74, 20, v16
	v_mul_lo_u16_e32 v16, 24, v74
	;; [unrolled: 6-line block ×3, first 2 shown]
	v_sub_u16_e32 v77, v5, v16
	v_lshlrev_b32_e32 v16, 3, v77
	global_load_dwordx2 v[16:17], v16, s[4:5] offset:88
	ds_read_u16 v78, v39
	ds_read_u16 v79, v38
	v_mul_u32_u24_e32 v62, 0x90, v62
	s_mov_b32 s0, 0x5040100
	s_waitcnt vmcnt(7) lgkmcnt(1)
	v_mul_f16_sdwa v82, v78, v10 dst_sel:DWORD dst_unused:UNUSED_PAD src0_sel:DWORD src1_sel:WORD_1
	v_fma_f16 v82, v80, v10, -v82
	v_mul_f16_sdwa v80, v80, v10 dst_sel:DWORD dst_unused:UNUSED_PAD src0_sel:DWORD src1_sel:WORD_1
	v_fma_f16 v10, v78, v10, v80
	ds_read_u16 v78, v29 offset:2016
	ds_read_u16 v80, v29 offset:2142
	;; [unrolled: 1-line block ×8, first 2 shown]
	s_waitcnt lgkmcnt(7)
	v_mul_f16_sdwa v89, v78, v11 dst_sel:DWORD dst_unused:UNUSED_PAD src0_sel:DWORD src1_sel:WORD_1
	v_fma_f16 v89, v81, v11, -v89
	v_mul_f16_sdwa v81, v81, v11 dst_sel:DWORD dst_unused:UNUSED_PAD src0_sel:DWORD src1_sel:WORD_1
	v_fma_f16 v11, v78, v11, v81
	ds_read_u16 v78, v29 offset:1134
	ds_read_u16 v81, v29 offset:1260
	;; [unrolled: 1-line block ×7, first 2 shown]
	ds_read_u16 v95, v29
	s_waitcnt vmcnt(5) lgkmcnt(7)
	v_mul_f16_sdwa v96, v78, v8 dst_sel:DWORD dst_unused:UNUSED_PAD src0_sel:DWORD src1_sel:WORD_1
	v_fma_f16 v96, v60, v8, -v96
	v_mul_f16_sdwa v60, v60, v8 dst_sel:DWORD dst_unused:UNUSED_PAD src0_sel:DWORD src1_sel:WORD_1
	v_fma_f16 v8, v78, v8, v60
	v_mul_f16_sdwa v60, v80, v9 dst_sel:DWORD dst_unused:UNUSED_PAD src0_sel:DWORD src1_sel:WORD_1
	v_fma_f16 v60, v61, v9, -v60
	v_mul_f16_sdwa v61, v61, v9 dst_sel:DWORD dst_unused:UNUSED_PAD src0_sel:DWORD src1_sel:WORD_1
	v_fma_f16 v9, v80, v9, v61
	s_waitcnt lgkmcnt(6)
	v_mul_f16_sdwa v61, v81, v12 dst_sel:DWORD dst_unused:UNUSED_PAD src0_sel:DWORD src1_sel:WORD_1
	v_fma_f16 v61, v58, v12, -v61
	v_mul_f16_sdwa v58, v58, v12 dst_sel:DWORD dst_unused:UNUSED_PAD src0_sel:DWORD src1_sel:WORD_1
	v_fma_f16 v12, v81, v12, v58
	v_mul_f16_sdwa v58, v83, v13 dst_sel:DWORD dst_unused:UNUSED_PAD src0_sel:DWORD src1_sel:WORD_1
	v_fma_f16 v58, v59, v13, -v58
	v_mul_f16_sdwa v59, v59, v13 dst_sel:DWORD dst_unused:UNUSED_PAD src0_sel:DWORD src1_sel:WORD_1
	v_fma_f16 v13, v83, v13, v59
	s_waitcnt vmcnt(4) lgkmcnt(5)
	v_mul_f16_sdwa v59, v90, v14 dst_sel:DWORD dst_unused:UNUSED_PAD src0_sel:DWORD src1_sel:WORD_1
	v_fma_f16 v59, v56, v14, -v59
	v_mul_f16_sdwa v56, v56, v14 dst_sel:DWORD dst_unused:UNUSED_PAD src0_sel:DWORD src1_sel:WORD_1
	v_fma_f16 v56, v90, v14, v56
	v_mul_f16_sdwa v14, v84, v15 dst_sel:DWORD dst_unused:UNUSED_PAD src0_sel:DWORD src1_sel:WORD_1
	v_fma_f16 v78, v57, v15, -v14
	v_mul_f16_sdwa v14, v57, v15 dst_sel:DWORD dst_unused:UNUSED_PAD src0_sel:DWORD src1_sel:WORD_1
	v_fma_f16 v57, v84, v15, v14
	s_waitcnt vmcnt(3) lgkmcnt(4)
	;; [unrolled: 9-line block ×5, first 2 shown]
	v_mul_f16_sdwa v14, v94, v16 dst_sel:DWORD dst_unused:UNUSED_PAD src0_sel:DWORD src1_sel:WORD_1
	v_fma_f16 v87, v48, v16, -v14
	v_mul_f16_sdwa v14, v48, v16 dst_sel:DWORD dst_unused:UNUSED_PAD src0_sel:DWORD src1_sel:WORD_1
	v_fma_f16 v48, v94, v16, v14
	v_mul_f16_sdwa v14, v88, v17 dst_sel:DWORD dst_unused:UNUSED_PAD src0_sel:DWORD src1_sel:WORD_1
	v_fma_f16 v90, v49, v17, -v14
	v_mul_f16_sdwa v14, v49, v17 dst_sel:DWORD dst_unused:UNUSED_PAD src0_sel:DWORD src1_sel:WORD_1
	v_fma_f16 v49, v88, v17, v14
	v_add_f16_e32 v14, v82, v89
	v_fma_f16 v14, v14, -0.5, v47
	v_sub_f16_e32 v15, v10, v11
	v_fma_f16 v16, v15, s6, v14
	v_fma_f16 v15, v15, s7, v14
	s_waitcnt lgkmcnt(0)
	v_add_f16_e32 v14, v95, v10
	v_add_f16_e32 v10, v10, v11
	;; [unrolled: 1-line block ×3, first 2 shown]
	v_fma_f16 v10, v10, -0.5, v95
	v_sub_f16_e32 v14, v82, v89
	v_add_f16_e32 v11, v47, v82
	v_fma_f16 v47, v14, s7, v10
	v_fma_f16 v10, v14, s6, v10
	v_add_f16_e32 v14, v96, v60
	v_fma_f16 v14, v14, -0.5, v46
	v_sub_f16_e32 v17, v8, v9
	v_fma_f16 v18, v17, s6, v14
	v_fma_f16 v17, v17, s7, v14
	v_add_f16_e32 v14, v61, v58
	v_fma_f16 v14, v14, -0.5, v45
	v_sub_f16_e32 v19, v12, v13
	;; [unrolled: 5-line block ×4, first 2 shown]
	v_fma_f16 v82, v23, s6, v14
	v_fma_f16 v23, v23, s7, v14
	v_add_f16_e32 v14, v83, v84
	v_add_f16_e32 v11, v11, v89
	v_fma_f16 v14, v14, -0.5, v42
	v_sub_f16_e32 v89, v52, v53
	v_fma_f16 v91, v89, s6, v14
	v_fma_f16 v89, v89, s7, v14
	v_add_f16_e32 v14, v85, v86
	v_fma_f16 v14, v14, -0.5, v41
	v_sub_f16_e32 v92, v50, v51
	v_fma_f16 v93, v92, s6, v14
	v_fma_f16 v92, v92, s7, v14
	;; [unrolled: 5-line block ×3, first 2 shown]
	v_mov_b32_e32 v14, 1
	v_lshlrev_b32_sdwa v63, v14, v63 dst_sel:DWORD dst_unused:UNUSED_PAD src0_sel:DWORD src1_sel:BYTE_0
	v_add3_u32 v62, 0, v62, v63
	ds_read_u16 v63, v30
	ds_read_u16 v97, v31
	;; [unrolled: 1-line block ×6, first 2 shown]
	s_waitcnt lgkmcnt(0)
	; wave barrier
	s_waitcnt lgkmcnt(0)
	ds_write_b16 v62, v11
	ds_write_b16 v62, v16 offset:48
	ds_write_b16 v62, v15 offset:96
	v_lshlrev_b32_sdwa v11, v14, v65 dst_sel:DWORD dst_unused:UNUSED_PAD src0_sel:DWORD src1_sel:BYTE_0
	v_mul_u32_u24_e32 v15, 0x90, v64
	v_add3_u32 v11, 0, v15, v11
	v_add_f16_e32 v15, v46, v96
	v_add_f16_e32 v15, v15, v60
	ds_write_b16 v11, v15
	ds_write_b16 v11, v18 offset:48
	ds_write_b16 v11, v17 offset:96
	v_lshlrev_b32_sdwa v15, v14, v67 dst_sel:DWORD dst_unused:UNUSED_PAD src0_sel:DWORD src1_sel:BYTE_0
	v_mul_u32_u24_e32 v16, 0x90, v66
	v_add3_u32 v46, 0, v16, v15
	v_add_f16_e32 v15, v45, v61
	v_add_f16_e32 v15, v15, v58
	;; [unrolled: 8-line block ×3, first 2 shown]
	ds_write_b16 v45, v15
	ds_write_b16 v45, v22 offset:48
	ds_write_b16 v45, v21 offset:96
	v_perm_b32 v15, v72, v70, s0
	v_pk_mul_lo_u16 v15, v15, s1 op_sel_hi:[1,0]
	v_lshlrev_b32_e32 v16, 1, v71
	v_and_b32_e32 v17, 0xfff0, v15
	v_add3_u32 v64, 0, v17, v16
	v_add_f16_e32 v16, v43, v80
	v_add_f16_e32 v16, v16, v81
	ds_write_b16 v64, v16
	ds_write_b16 v64, v82 offset:48
	ds_write_b16 v64, v23 offset:96
	v_lshlrev_b32_e32 v16, 1, v73
	v_lshrrev_b32_e32 v15, 16, v15
	v_add3_u32 v65, 0, v15, v16
	v_add_f16_e32 v15, v42, v83
	v_add_f16_e32 v15, v15, v84
	ds_write_b16 v65, v15
	ds_write_b16 v65, v91 offset:48
	ds_write_b16 v65, v89 offset:96
	v_perm_b32 v15, v76, v74, s0
	v_pk_mul_lo_u16 v15, v15, s1 op_sel_hi:[1,0]
	v_lshlrev_b32_e32 v16, 1, v75
	v_and_b32_e32 v17, 0xfff0, v15
	v_add3_u32 v66, 0, v17, v16
	v_add_f16_e32 v16, v41, v85
	v_add_f16_e32 v16, v16, v86
	ds_write_b16 v66, v16
	ds_write_b16 v66, v93 offset:48
	ds_write_b16 v66, v92 offset:96
	v_lshlrev_b32_e32 v16, 1, v77
	v_lshrrev_b32_e32 v15, 16, v15
	v_add_f16_e32 v7, v7, v87
	v_add3_u32 v67, 0, v15, v16
	v_add_f16_e32 v7, v7, v90
	ds_write_b16 v67, v7
	ds_write_b16 v67, v95 offset:48
	ds_write_b16 v67, v94 offset:96
	v_add_f16_e32 v7, v63, v8
	v_add_f16_e32 v8, v8, v9
	;; [unrolled: 1-line block ×3, first 2 shown]
	v_fma_f16 v8, v8, -0.5, v63
	v_sub_f16_e32 v9, v96, v60
	s_waitcnt lgkmcnt(0)
	; wave barrier
	s_waitcnt lgkmcnt(0)
	ds_read_u16 v21, v30
	ds_read_u16 v20, v31
	;; [unrolled: 1-line block ×9, first 2 shown]
	ds_read_u16 v69, v29 offset:1134
	ds_read_u16 v70, v29 offset:1260
	;; [unrolled: 1-line block ×15, first 2 shown]
	s_waitcnt lgkmcnt(0)
	; wave barrier
	s_waitcnt lgkmcnt(0)
	ds_write_b16 v62, v88
	ds_write_b16 v62, v47 offset:48
	ds_write_b16 v62, v10 offset:96
	v_fma_f16 v10, v9, s7, v8
	v_fma_f16 v8, v9, s6, v8
	ds_write_b16 v11, v7
	ds_write_b16 v11, v10 offset:48
	ds_write_b16 v11, v8 offset:96
	v_add_f16_e32 v8, v12, v13
	v_add_f16_e32 v7, v97, v12
	v_fma_f16 v8, v8, -0.5, v97
	v_sub_f16_e32 v9, v61, v58
	v_add_f16_e32 v7, v7, v13
	v_fma_f16 v10, v9, s7, v8
	v_fma_f16 v8, v9, s6, v8
	ds_write_b16 v46, v7
	ds_write_b16 v46, v10 offset:48
	ds_write_b16 v46, v8 offset:96
	v_add_f16_e32 v8, v56, v57
	v_add_f16_e32 v7, v98, v56
	v_fma_f16 v8, v8, -0.5, v98
	v_sub_f16_e32 v9, v59, v78
	v_add_f16_e32 v7, v7, v57
	;; [unrolled: 10-line block ×3, first 2 shown]
	v_fma_f16 v10, v9, s7, v8
	v_fma_f16 v8, v9, s6, v8
	ds_write_b16 v64, v7
	ds_write_b16 v64, v10 offset:48
	ds_write_b16 v64, v8 offset:96
	v_add_f16_e32 v8, v52, v53
	v_add_f16_e32 v11, v50, v51
	;; [unrolled: 1-line block ×3, first 2 shown]
	v_fma_f16 v8, v8, -0.5, v100
	v_sub_f16_e32 v9, v83, v84
	v_fma_f16 v11, v11, -0.5, v101
	v_sub_f16_e32 v12, v85, v86
	v_add_f16_e32 v45, v48, v49
	v_add_f16_e32 v7, v7, v53
	v_fma_f16 v10, v9, s7, v8
	v_fma_f16 v8, v9, s6, v8
	v_add_f16_e32 v9, v101, v50
	v_fma_f16 v13, v12, s7, v11
	v_fma_f16 v11, v12, s6, v11
	v_add_f16_e32 v12, v79, v48
	v_fma_f16 v45, v45, -0.5, v79
	v_sub_f16_e32 v46, v87, v90
	v_add_f16_e32 v9, v9, v51
	v_add_f16_e32 v12, v12, v49
	v_fma_f16 v47, v46, s7, v45
	v_fma_f16 v45, v46, s6, v45
	ds_write_b16 v65, v7
	ds_write_b16 v65, v10 offset:48
	ds_write_b16 v65, v8 offset:96
	ds_write_b16 v66, v9
	ds_write_b16 v66, v13 offset:48
	ds_write_b16 v66, v11 offset:96
	;; [unrolled: 3-line block ×3, first 2 shown]
	v_mov_b32_e32 v7, 0
	v_lshl_add_u64 v[8:9], v[6:7], 2, s[4:5]
	v_add_u32_e32 v6, -9, v24
	v_cmp_gt_u32_e64 s[0:1], 9, v24
	s_waitcnt lgkmcnt(0)
	; wave barrier
	s_waitcnt lgkmcnt(0)
	v_cndmask_b32_e64 v6, v6, v28, s[0:1]
	v_lshlrev_b32_e32 v6, 1, v6
	global_load_dwordx2 v[46:47], v[8:9], off offset:280
	v_lshl_add_u64 v[8:9], v[6:7], 2, s[4:5]
	v_mov_b32_e32 v7, 57
	v_mul_lo_u16_sdwa v10, v27, v7 dst_sel:DWORD dst_unused:UNUSED_PAD src0_sel:BYTE_0 src1_sel:DWORD
	v_lshrrev_b16_e32 v45, 12, v10
	v_mul_lo_u16_sdwa v7, v25, v7 dst_sel:DWORD dst_unused:UNUSED_PAD src0_sel:BYTE_0 src1_sel:DWORD
	global_load_dwordx2 v[8:9], v[8:9], off offset:280
	v_mul_lo_u16_e32 v10, 0x48, v45
	v_lshrrev_b16_e32 v7, 12, v7
	v_sub_u16_e32 v56, v27, v10
	v_mul_lo_u16_e32 v12, 0x48, v7
	v_lshlrev_b32_sdwa v10, v40, v56 dst_sel:DWORD dst_unused:UNUSED_PAD src0_sel:DWORD src1_sel:BYTE_0
	v_sub_u16_e32 v79, v25, v12
	s_mov_b32 s0, 0xe38f
	global_load_dwordx2 v[10:11], v10, s[4:5] offset:280
	v_lshlrev_b32_sdwa v12, v40, v79 dst_sel:DWORD dst_unused:UNUSED_PAD src0_sel:DWORD src1_sel:BYTE_0
	v_mul_u32_u24_sdwa v40, v2, s0 dst_sel:DWORD dst_unused:UNUSED_PAD src0_sel:WORD_0 src1_sel:DWORD
	v_lshrrev_b32_e32 v81, 22, v40
	v_mul_lo_u16_e32 v40, 0x48, v81
	v_sub_u16_e32 v83, v2, v40
	global_load_dwordx2 v[12:13], v12, s[4:5] offset:280
	v_lshlrev_b32_e32 v2, 3, v83
	global_load_dwordx2 v[50:51], v2, s[4:5] offset:280
	v_mul_u32_u24_sdwa v2, v3, s0 dst_sel:DWORD dst_unused:UNUSED_PAD src0_sel:WORD_0 src1_sel:DWORD
	v_lshrrev_b32_e32 v85, 22, v2
	v_mul_lo_u16_e32 v2, 0x48, v85
	v_sub_u16_e32 v89, v3, v2
	v_lshlrev_b32_e32 v2, 3, v89
	global_load_dwordx2 v[52:53], v2, s[4:5] offset:280
	v_mul_u32_u24_sdwa v2, v4, s0 dst_sel:DWORD dst_unused:UNUSED_PAD src0_sel:WORD_0 src1_sel:DWORD
	v_lshrrev_b32_e32 v90, 22, v2
	v_mul_lo_u16_e32 v2, 0x48, v90
	v_sub_u16_e32 v91, v4, v2
	;; [unrolled: 6-line block ×3, first 2 shown]
	v_lshlrev_b32_e32 v2, 3, v92
	global_load_dwordx2 v[4:5], v2, s[4:5] offset:280
	ds_read_u16 v39, v39
	ds_read_u16 v2, v38
	v_cmp_lt_u32_e64 s[0:1], 8, v24
	s_waitcnt vmcnt(7) lgkmcnt(1)
	v_mul_f16_sdwa v3, v39, v46 dst_sel:DWORD dst_unused:UNUSED_PAD src0_sel:DWORD src1_sel:WORD_1
	v_mul_f16_sdwa v38, v68, v46 dst_sel:DWORD dst_unused:UNUSED_PAD src0_sel:DWORD src1_sel:WORD_1
	v_fma_f16 v3, v68, v46, -v3
	v_fma_f16 v40, v39, v46, v38
	ds_read_u16 v38, v29 offset:2016
	ds_read_u16 v39, v29 offset:2142
	;; [unrolled: 1-line block ×8, first 2 shown]
	s_waitcnt lgkmcnt(7)
	v_mul_f16_sdwa v46, v38, v47 dst_sel:DWORD dst_unused:UNUSED_PAD src0_sel:DWORD src1_sel:WORD_1
	v_mul_f16_sdwa v48, v73, v47 dst_sel:DWORD dst_unused:UNUSED_PAD src0_sel:DWORD src1_sel:WORD_1
	v_fma_f16 v46, v73, v47, -v46
	v_fma_f16 v47, v38, v47, v48
	ds_read_u16 v38, v29 offset:1134
	ds_read_u16 v59, v29 offset:1260
	ds_read_u16 v63, v29 offset:1386
	ds_read_u16 v66, v29 offset:1512
	ds_read_u16 v86, v29 offset:1638
	ds_read_u16 v87, v29 offset:1764
	ds_read_u16 v88, v29 offset:1890
	ds_read_u16 v62, v29
	s_waitcnt vmcnt(6) lgkmcnt(7)
	v_mul_f16_sdwa v48, v38, v8 dst_sel:DWORD dst_unused:UNUSED_PAD src0_sel:DWORD src1_sel:WORD_1
	v_mul_f16_sdwa v49, v69, v8 dst_sel:DWORD dst_unused:UNUSED_PAD src0_sel:DWORD src1_sel:WORD_1
	v_fma_f16 v48, v69, v8, -v48
	v_fma_f16 v57, v38, v8, v49
	v_mul_f16_sdwa v8, v39, v9 dst_sel:DWORD dst_unused:UNUSED_PAD src0_sel:DWORD src1_sel:WORD_1
	v_fma_f16 v58, v74, v9, -v8
	v_mul_f16_sdwa v8, v74, v9 dst_sel:DWORD dst_unused:UNUSED_PAD src0_sel:DWORD src1_sel:WORD_1
	v_fma_f16 v67, v39, v9, v8
	s_waitcnt vmcnt(5) lgkmcnt(6)
	v_mul_f16_sdwa v8, v59, v10 dst_sel:DWORD dst_unused:UNUSED_PAD src0_sel:DWORD src1_sel:WORD_1
	v_fma_f16 v49, v70, v10, -v8
	v_mul_f16_sdwa v8, v70, v10 dst_sel:DWORD dst_unused:UNUSED_PAD src0_sel:DWORD src1_sel:WORD_1
	v_fma_f16 v59, v59, v10, v8
	v_mul_f16_sdwa v8, v61, v11 dst_sel:DWORD dst_unused:UNUSED_PAD src0_sel:DWORD src1_sel:WORD_1
	v_fma_f16 v60, v75, v11, -v8
	v_mul_f16_sdwa v8, v75, v11 dst_sel:DWORD dst_unused:UNUSED_PAD src0_sel:DWORD src1_sel:WORD_1
	v_fma_f16 v70, v61, v11, v8
	s_waitcnt vmcnt(4) lgkmcnt(5)
	v_mul_f16_sdwa v8, v63, v12 dst_sel:DWORD dst_unused:UNUSED_PAD src0_sel:DWORD src1_sel:WORD_1
	v_fma_f16 v11, v71, v12, -v8
	v_mul_f16_sdwa v8, v71, v12 dst_sel:DWORD dst_unused:UNUSED_PAD src0_sel:DWORD src1_sel:WORD_1
	;; [unrolled: 9-line block ×6, first 2 shown]
	v_fma_f16 v43, v88, v4, v8
	v_mul_f16_sdwa v4, v84, v5 dst_sel:DWORD dst_unused:UNUSED_PAD src0_sel:DWORD src1_sel:WORD_1
	v_fma_f16 v74, v41, v5, -v4
	v_mul_f16_sdwa v4, v41, v5 dst_sel:DWORD dst_unused:UNUSED_PAD src0_sel:DWORD src1_sel:WORD_1
	v_fma_f16 v78, v84, v5, v4
	v_mov_b32_e32 v4, 0x1b0
	v_cndmask_b32_e64 v4, 0, v4, s[0:1]
	v_add3_u32 v41, 0, v4, v6
	v_add_f16_e32 v4, v3, v46
	v_fma_f16 v4, v4, -0.5, v22
	v_sub_f16_e32 v5, v40, v47
	v_fma_f16 v9, v5, s6, v4
	v_fma_f16 v10, v5, s7, v4
	v_add_f16_e32 v4, v48, v58
	v_fma_f16 v4, v4, -0.5, v21
	v_sub_f16_e32 v5, v57, v67
	v_lshlrev_b32_sdwa v6, v14, v56 dst_sel:DWORD dst_unused:UNUSED_PAD src0_sel:DWORD src1_sel:BYTE_0
	v_lshlrev_b32_sdwa v8, v14, v79 dst_sel:DWORD dst_unused:UNUSED_PAD src0_sel:DWORD src1_sel:BYTE_0
	v_fma_f16 v14, v5, s6, v4
	v_fma_f16 v23, v5, s7, v4
	v_add_f16_e32 v4, v49, v60
	v_fma_f16 v4, v4, -0.5, v20
	v_sub_f16_e32 v5, v59, v70
	v_fma_f16 v38, v5, s6, v4
	v_fma_f16 v39, v5, s7, v4
	v_add_f16_e32 v4, v11, v64
	v_fma_f16 v4, v4, -0.5, v19
	v_sub_f16_e32 v5, v63, v73
	v_fma_f16 v44, v5, s6, v4
	v_fma_f16 v50, v5, s7, v4
	v_add_f16_e32 v4, v12, v66
	v_fma_f16 v4, v4, -0.5, v18
	v_sub_f16_e32 v5, v65, v75
	v_fma_f16 v51, v5, s6, v4
	v_fma_f16 v52, v5, s7, v4
	v_add_f16_e32 v4, v13, v69
	v_fma_f16 v4, v4, -0.5, v17
	v_sub_f16_e32 v5, v68, v76
	v_fma_f16 v53, v5, s6, v4
	v_fma_f16 v54, v5, s7, v4
	v_add_f16_e32 v4, v61, v72
	v_fma_f16 v4, v4, -0.5, v16
	v_sub_f16_e32 v5, v71, v77
	v_fma_f16 v55, v5, s6, v4
	v_fma_f16 v56, v5, s7, v4
	v_add_f16_e32 v4, v42, v74
	v_add_f16_e32 v22, v22, v3
	v_fma_f16 v5, v4, -0.5, v15
	v_sub_f16_e32 v79, v43, v78
	v_add_f16_e32 v22, v22, v46
	v_fma_f16 v4, v79, s6, v5
	v_fma_f16 v5, v79, s7, v5
	ds_read_u16 v84, v35
	ds_read_u16 v82, v36
	ds_read_u16 v79, v37
	ds_read_u16 v88, v30
	ds_read_u16 v86, v34
	ds_read_u16 v87, v31
	s_waitcnt lgkmcnt(0)
	; wave barrier
	s_waitcnt lgkmcnt(0)
	ds_write_b16 v29, v22
	ds_write_b16 v29, v9 offset:144
	ds_write_b16 v29, v10 offset:288
	v_add_f16_e32 v9, v21, v48
	v_add_f16_e32 v9, v9, v58
	ds_write_b16 v41, v9
	ds_write_b16 v41, v14 offset:144
	ds_write_b16 v41, v23 offset:288
	v_mul_u32_u24_e32 v9, 0x1b0, v45
	v_add3_u32 v14, 0, v9, v6
	v_add_f16_e32 v6, v20, v49
	v_add_f16_e32 v6, v6, v60
	ds_write_b16 v14, v6
	ds_write_b16 v14, v38 offset:144
	ds_write_b16 v14, v39 offset:288
	v_mul_u32_u24_e32 v6, 0x1b0, v7
	v_add3_u32 v80, 0, v6, v8
	v_add_f16_e32 v6, v19, v11
	v_add_f16_e32 v6, v6, v64
	ds_write_b16 v80, v6
	ds_write_b16 v80, v44 offset:144
	ds_write_b16 v80, v50 offset:288
	v_lshlrev_b32_e32 v6, 1, v83
	v_mul_u32_u24_e32 v7, 0x1b0, v81
	v_add3_u32 v81, 0, v7, v6
	v_add_f16_e32 v6, v18, v12
	v_add_f16_e32 v6, v6, v66
	ds_write_b16 v81, v6
	ds_write_b16 v81, v51 offset:144
	ds_write_b16 v81, v52 offset:288
	v_lshlrev_b32_e32 v6, 1, v89
	;; [unrolled: 8-line block ×3, first 2 shown]
	v_mul_u32_u24_e32 v7, 0x1b0, v90
	v_add3_u32 v17, 0, v7, v6
	v_add_f16_e32 v6, v16, v61
	v_add_f16_e32 v6, v6, v72
	ds_write_b16 v17, v6
	ds_write_b16 v17, v55 offset:144
	v_add_f16_e32 v6, v15, v42
	v_add_f16_e32 v6, v6, v74
	v_lshl_add_u32 v15, v92, 1, 0
	ds_write_b16 v17, v56 offset:288
	ds_write_b16 v15, v6 offset:2592
	;; [unrolled: 1-line block ×4, first 2 shown]
	s_waitcnt lgkmcnt(0)
	; wave barrier
	s_waitcnt lgkmcnt(0)
	ds_read_u16 v18, v29
	ds_read_u16 v20, v29 offset:432
	ds_read_u16 v44, v29 offset:558
	;; [unrolled: 1-line block ×17, first 2 shown]
	ds_read_u16 v50, v31
	ds_read_u16 v35, v30
	ds_read_u16 v56, v29 offset:2844
	v_sub_u32_e32 v7, 0, v33
	v_cmp_gt_u32_e64 s[0:1], 27, v24
	v_add_u32_e32 v85, v32, v7
                                        ; implicit-def: $vgpr7
                                        ; implicit-def: $vgpr8
                                        ; implicit-def: $vgpr9
                                        ; implicit-def: $vgpr10
	s_and_saveexec_b64 s[2:3], s[0:1]
	s_cbranch_execz .LBB0_15
; %bb.14:
	ds_read_u16 v4, v29 offset:810
	ds_read_u16 v5, v29 offset:1242
	;; [unrolled: 1-line block ×5, first 2 shown]
	ds_read_u16 v6, v85
	ds_read_u16 v8, v29 offset:2970
.LBB0_15:
	s_or_b64 exec, exec, s[2:3]
	v_add_f16_e32 v16, v62, v40
	v_add_f16_e32 v32, v40, v47
	v_sub_f16_e32 v3, v3, v46
	v_add_f16_e32 v40, v57, v67
	v_sub_f16_e32 v46, v48, v58
	v_add_f16_e32 v58, v63, v73
	v_fma_f16 v40, v40, -0.5, v88
	v_fma_f16 v58, v58, -0.5, v86
	v_sub_f16_e32 v11, v11, v64
	v_add_f16_e32 v16, v16, v47
	v_fma_f16 v47, v46, s7, v40
	v_fma_f16 v40, v46, s6, v40
	v_add_f16_e32 v46, v87, v59
	v_add_f16_e32 v48, v59, v70
	v_fma_f16 v59, v11, s7, v58
	v_fma_f16 v58, v11, s6, v58
	v_add_f16_e32 v11, v84, v65
	v_sub_f16_e32 v49, v49, v60
	v_add_f16_e32 v60, v11, v75
	v_add_f16_e32 v11, v65, v75
	v_fma_f16 v32, v32, -0.5, v62
	v_fma_f16 v48, v48, -0.5, v87
	;; [unrolled: 1-line block ×3, first 2 shown]
	v_sub_f16_e32 v12, v12, v66
	v_fma_f16 v33, v3, s7, v32
	v_fma_f16 v3, v3, s6, v32
	v_add_f16_e32 v32, v88, v57
	v_fma_f16 v57, v49, s7, v48
	v_fma_f16 v48, v49, s6, v48
	v_add_f16_e32 v49, v86, v63
	;; [unrolled: 3-line block ×3, first 2 shown]
	v_add_f16_e32 v64, v11, v76
	v_add_f16_e32 v11, v68, v76
	v_fma_f16 v11, v11, -0.5, v82
	v_sub_f16_e32 v12, v13, v69
	v_fma_f16 v65, v12, s7, v11
	v_fma_f16 v66, v12, s6, v11
	v_add_f16_e32 v11, v79, v71
	v_add_f16_e32 v32, v32, v67
	;; [unrolled: 1-line block ×4, first 2 shown]
	v_fma_f16 v11, v11, -0.5, v79
	v_sub_f16_e32 v12, v61, v72
	v_fma_f16 v61, v12, s7, v11
	v_fma_f16 v68, v12, s6, v11
	v_add_f16_e32 v12, v43, v78
	v_add_f16_e32 v46, v46, v70
	v_add_f16_e32 v49, v49, v73
	v_add_f16_e32 v11, v2, v43
	v_fma_f16 v2, v12, -0.5, v2
	v_sub_f16_e32 v13, v42, v74
	v_add_f16_e32 v11, v11, v78
	v_fma_f16 v12, v13, s7, v2
	v_fma_f16 v13, v13, s6, v2
	s_waitcnt lgkmcnt(0)
	; wave barrier
	s_waitcnt lgkmcnt(0)
	ds_write_b16 v29, v16
	ds_write_b16 v29, v33 offset:144
	ds_write_b16 v29, v3 offset:288
	ds_write_b16 v41, v32
	ds_write_b16 v41, v47 offset:144
	ds_write_b16 v41, v40 offset:288
	ds_write_b16 v14, v46
	ds_write_b16 v14, v57 offset:144
	ds_write_b16 v14, v48 offset:288
	ds_write_b16 v80, v49
	ds_write_b16 v80, v59 offset:144
	ds_write_b16 v80, v58 offset:288
	ds_write_b16 v81, v60
	ds_write_b16 v81, v62 offset:144
	ds_write_b16 v81, v63 offset:288
	ds_write_b16 v83, v64
	ds_write_b16 v83, v65 offset:144
	ds_write_b16 v83, v66 offset:288
	ds_write_b16 v17, v67
	ds_write_b16 v17, v61 offset:144
	ds_write_b16 v17, v68 offset:288
	ds_write_b16 v15, v11 offset:2592
	ds_write_b16 v15, v12 offset:2736
	;; [unrolled: 1-line block ×3, first 2 shown]
	s_waitcnt lgkmcnt(0)
	; wave barrier
	s_waitcnt lgkmcnt(0)
	ds_read_u16 v32, v29
	ds_read_u16 v33, v29 offset:432
	ds_read_u16 v57, v29 offset:558
	;; [unrolled: 1-line block ×7, first 2 shown]
	ds_read_u16 v59, v31
	ds_read_u16 v40, v29 offset:1296
	ds_read_u16 v60, v29 offset:1116
	;; [unrolled: 1-line block ×10, first 2 shown]
	ds_read_u16 v30, v30
	ds_read_u16 v65, v29 offset:2844
                                        ; implicit-def: $vgpr14
                                        ; implicit-def: $vgpr15
                                        ; implicit-def: $vgpr16
                                        ; implicit-def: $vgpr17
	s_and_saveexec_b64 s[2:3], s[0:1]
	s_cbranch_execz .LBB0_17
; %bb.16:
	ds_read_u16 v12, v29 offset:810
	ds_read_u16 v13, v29 offset:1242
	;; [unrolled: 1-line block ×5, first 2 shown]
	ds_read_u16 v11, v85
	ds_read_u16 v15, v29 offset:2970
.LBB0_17:
	s_or_b64 exec, exec, s[2:3]
	s_and_saveexec_b64 s[2:3], vcc
	s_cbranch_execz .LBB0_20
; %bb.18:
	v_mul_i32_i24_e32 v2, 6, v27
	v_mov_b32_e32 v3, 0
	v_lshl_add_u64 v[70:71], v[2:3], 2, s[4:5]
	global_load_dwordx4 v[66:69], v[70:71], off offset:856
	global_load_dwordx2 v[74:75], v[70:71], off offset:872
	v_mul_i32_i24_e32 v2, 6, v28
	v_lshl_add_u64 v[28:29], v[2:3], 2, s[4:5]
	global_load_dwordx4 v[70:73], v[28:29], off offset:856
	global_load_dwordx2 v[76:77], v[28:29], off offset:872
	s_mov_b32 s6, 0xbcab
	s_movk_i32 s10, 0x3b00
	s_mov_b32 s12, 0xb9e0
	s_movk_i32 s13, 0x39e0
	s_movk_i32 s2, 0x370e
	;; [unrolled: 1-line block ×3, first 2 shown]
	s_mov_b32 s11, 0xb574
	s_movk_i32 s3, 0x3574
	s_movk_i32 s16, 0x510
	;; [unrolled: 1-line block ×3, first 2 shown]
	s_waitcnt vmcnt(3) lgkmcnt(8)
	v_mul_f16_sdwa v2, v61, v66 dst_sel:DWORD dst_unused:UNUSED_PAD src0_sel:DWORD src1_sel:WORD_1
	s_waitcnt vmcnt(2) lgkmcnt(0)
	v_mul_f16_sdwa v27, v65, v75 dst_sel:DWORD dst_unused:UNUSED_PAD src0_sel:DWORD src1_sel:WORD_1
	v_mul_f16_sdwa v28, v63, v69 dst_sel:DWORD dst_unused:UNUSED_PAD src0_sel:DWORD src1_sel:WORD_1
	;; [unrolled: 1-line block ×11, first 2 shown]
	v_fma_f16 v2, v53, v66, -v2
	v_fma_f16 v27, v56, v75, -v27
	;; [unrolled: 1-line block ×6, first 2 shown]
	v_fma_f16 v53, v65, v75, v80
	v_fma_f16 v54, v61, v66, v81
	;; [unrolled: 1-line block ×6, first 2 shown]
	v_sub_f16_e32 v62, v2, v27
	v_sub_f16_e32 v63, v28, v29
	v_add_f16_e32 v68, v2, v27
	v_add_f16_e32 v2, v28, v29
	;; [unrolled: 1-line block ×3, first 2 shown]
	v_sub_f16_e32 v64, v51, v52
	v_add_f16_e32 v65, v54, v53
	v_add_f16_e32 v67, v60, v61
	v_sub_f16_e32 v29, v54, v53
	v_sub_f16_e32 v27, v56, v55
	;; [unrolled: 1-line block ×3, first 2 shown]
	v_add_f16_e32 v69, v68, v28
	v_add_f16_e32 v66, v56, v55
	v_sub_f16_e32 v52, v62, v63
	v_sub_f16_e32 v53, v63, v64
	v_add_f16_e32 v54, v63, v64
	v_add_f16_e32 v60, v65, v67
	v_sub_f16_e32 v61, v68, v2
	v_sub_f16_e32 v63, v2, v28
	;; [unrolled: 1-line block ×4, first 2 shown]
	v_add_f16_e32 v27, v27, v51
	v_add_f16_e32 v2, v2, v69
	v_sub_f16_e32 v55, v65, v66
	v_sub_f16_e32 v56, v66, v67
	v_add_f16_e32 v60, v66, v60
	v_mul_f16_e32 v66, 0x3a52, v61
	v_mul_f16_e32 v63, 0x2b26, v63
	;; [unrolled: 1-line block ×3, first 2 shown]
	v_add_f16_e32 v75, v29, v27
	v_add_f16_e32 v79, v50, v2
	v_sub_f16_e32 v28, v28, v68
	v_sub_f16_e32 v29, v51, v29
	;; [unrolled: 1-line block ×3, first 2 shown]
	v_add_f16_e32 v54, v62, v54
	v_mul_f16_e32 v62, 0x3a52, v55
	v_mul_f16_e32 v56, 0x2b26, v56
	v_add_f16_e32 v59, v59, v60
	v_fma_f16 v80, v2, s6, v79
	v_sub_f16_e32 v65, v67, v65
	v_fma_f16 v66, v28, s12, -v66
	v_mul_f16_e32 v51, 0x3b00, v29
	v_fma_f16 v29, v29, s10, -v69
	v_fma_f16 v28, v28, s13, -v63
	v_fma_f16 v55, v55, s14, v56
	v_fma_f16 v60, v60, s6, v59
	v_fma_f16 v62, v65, s12, -v62
	v_fma_f16 v56, v65, s13, -v56
	v_fma_f16 v29, v75, s2, v29
	v_add_f16_e32 v28, v28, v80
	v_fma_f16 v61, v61, s14, v63
	v_add_f16_e32 v55, v55, v60
	v_add_f16_e32 v62, v62, v60
	v_fma_f16 v51, v74, s11, -v51
	v_add_f16_e32 v56, v56, v60
	v_add_f16_e32 v60, v29, v28
	v_sub_f16_e32 v63, v28, v29
	s_waitcnt vmcnt(1)
	v_mul_f16_sdwa v28, v57, v70 dst_sel:DWORD dst_unused:UNUSED_PAD src0_sel:DWORD src1_sel:WORD_1
	v_mul_f16_e32 v53, 0xb846, v53
	v_add_f16_e32 v66, v66, v80
	v_fma_f16 v51, v75, s2, v51
	v_fma_f16 v65, v44, v70, -v28
	s_waitcnt vmcnt(0)
	v_mul_f16_sdwa v28, v58, v77 dst_sel:DWORD dst_unused:UNUSED_PAD src0_sel:DWORD src1_sel:WORD_1
	v_mul_f16_e32 v27, 0x3b00, v64
	v_fma_f16 v78, v52, s3, v53
	v_sub_f16_e32 v68, v66, v51
	v_fma_f16 v53, v64, s10, -v53
	v_add_f16_e32 v64, v51, v66
	v_fma_f16 v66, v45, v77, -v28
	v_mul_f16_sdwa v28, v47, v73 dst_sel:DWORD dst_unused:UNUSED_PAD src0_sel:DWORD src1_sel:WORD_1
	v_mul_f16_sdwa v29, v46, v71 dst_sel:DWORD dst_unused:UNUSED_PAD src0_sel:DWORD src1_sel:WORD_1
	v_fma_f16 v50, v74, s3, v69
	v_add_f16_e32 v61, v61, v80
	v_fma_f16 v74, v39, v73, -v28
	v_mul_f16_sdwa v28, v48, v72 dst_sel:DWORD dst_unused:UNUSED_PAD src0_sel:DWORD src1_sel:WORD_1
	v_fma_f16 v80, v36, v71, -v29
	v_mul_f16_sdwa v29, v49, v76 dst_sel:DWORD dst_unused:UNUSED_PAD src0_sel:DWORD src1_sel:WORD_1
	v_fma_f16 v50, v75, s2, v50
	v_fma_f16 v75, v37, v72, -v28
	v_fma_f16 v81, v38, v76, -v29
	v_fma_f16 v78, v54, s2, v78
	v_sub_f16_e32 v69, v65, v66
	v_sub_f16_e32 v28, v74, v75
	v_sub_f16_e32 v82, v80, v81
	v_add_f16_e32 v2, v78, v55
	v_sub_f16_e32 v55, v55, v78
	v_sub_f16_e32 v78, v69, v28
	;; [unrolled: 1-line block ×3, first 2 shown]
	v_add_f16_e32 v28, v28, v82
	v_add_f16_e32 v84, v69, v28
	v_mul_f16_sdwa v28, v45, v77 dst_sel:DWORD dst_unused:UNUSED_PAD src0_sel:DWORD src1_sel:WORD_1
	v_fma_f16 v45, v58, v77, v28
	v_mul_f16_sdwa v28, v44, v70 dst_sel:DWORD dst_unused:UNUSED_PAD src0_sel:DWORD src1_sel:WORD_1
	v_fma_f16 v52, v52, s11, -v27
	v_fma_f16 v44, v57, v70, v28
	v_mul_u32_u24_e32 v28, 6, v24
	v_fma_f16 v52, v54, s2, v52
	v_fma_f16 v53, v54, s2, v53
	v_mul_f16_e32 v83, 0xb846, v29
	v_lshlrev_b32_e32 v28, 2, v28
	v_sub_f16_e32 v27, v61, v50
	v_add_f16_e32 v67, v52, v62
	v_sub_f16_e32 v54, v56, v53
	v_add_f16_e32 v56, v53, v56
	;; [unrolled: 2-line block ×3, first 2 shown]
	v_fma_f16 v29, v78, s3, v83
	global_load_dwordx4 v[50:53], v28, s[4:5] offset:856
	v_fma_f16 v85, v84, s2, v29
	global_load_dwordx2 v[28:29], v28, s[4:5] offset:872
	v_mul_f16_sdwa v38, v38, v76 dst_sel:DWORD dst_unused:UNUSED_PAD src0_sel:DWORD src1_sel:WORD_1
	v_mul_f16_sdwa v36, v36, v71 dst_sel:DWORD dst_unused:UNUSED_PAD src0_sel:DWORD src1_sel:WORD_1
	;; [unrolled: 1-line block ×4, first 2 shown]
	v_fma_f16 v38, v49, v76, v38
	v_fma_f16 v36, v46, v71, v36
	v_add_f16_e32 v57, v44, v45
	v_fma_f16 v37, v48, v72, v37
	v_fma_f16 v39, v47, v73, v39
	v_add_f16_e32 v46, v36, v38
	v_add_f16_e32 v47, v39, v37
	;; [unrolled: 1-line block ×3, first 2 shown]
	v_sub_f16_e32 v48, v57, v47
	v_sub_f16_e32 v49, v47, v46
	v_add_f16_e32 v47, v47, v70
	v_add_f16_e32 v65, v65, v66
	;; [unrolled: 1-line block ×3, first 2 shown]
	v_sub_f16_e32 v44, v44, v45
	v_sub_f16_e32 v37, v39, v37
	;; [unrolled: 1-line block ×3, first 2 shown]
	v_mul_f16_e32 v58, 0x3a52, v48
	v_mul_f16_e32 v49, 0x2b26, v49
	v_add_f16_e32 v30, v30, v47
	v_add_f16_e32 v66, v74, v75
	;; [unrolled: 1-line block ×3, first 2 shown]
	v_sub_f16_e32 v39, v44, v37
	v_sub_f16_e32 v38, v37, v36
	v_add_f16_e32 v37, v37, v36
	v_sub_f16_e32 v46, v46, v57
	v_sub_f16_e32 v36, v36, v44
	v_fma_f16 v48, v48, s14, v49
	v_fma_f16 v47, v47, s6, v30
	v_sub_f16_e32 v71, v65, v66
	v_sub_f16_e32 v74, v66, v73
	v_add_f16_e32 v66, v66, v75
	v_mul_f16_e32 v38, 0xb846, v38
	v_add_f16_e32 v37, v44, v37
	v_sub_f16_e32 v69, v82, v69
	v_fma_f16 v57, v46, s12, -v58
	v_mul_f16_e32 v44, 0x3b00, v36
	v_fma_f16 v46, v46, s13, -v49
	v_add_f16_e32 v48, v48, v47
	v_mul_f16_e32 v74, 0x2b26, v74
	v_add_f16_e32 v35, v35, v66
	v_fma_f16 v45, v39, s3, v38
	v_mul_f16_e32 v76, 0x3b00, v69
	v_add_f16_e32 v57, v57, v47
	v_sub_f16_e32 v65, v73, v65
	v_fma_f16 v39, v39, s11, -v44
	v_add_f16_e32 v46, v46, v47
	v_fma_f16 v47, v69, s10, -v83
	v_fma_f16 v36, v36, s10, -v38
	v_fma_f16 v66, v66, s6, v35
	v_fma_f16 v45, v37, s2, v45
	v_fma_f16 v76, v78, s11, -v76
	v_fma_f16 v39, v37, s2, v39
	v_fma_f16 v47, v84, s2, v47
	;; [unrolled: 1-line block ×3, first 2 shown]
	v_fma_f16 v37, v65, s13, -v74
	v_add_f16_e32 v70, v85, v48
	v_fma_f16 v76, v84, s2, v76
	v_sub_f16_e32 v49, v46, v47
	v_add_f16_e32 v37, v37, v66
	v_add_f16_e32 v46, v47, v46
	v_sub_f16_e32 v47, v48, v85
	v_mul_f16_e32 v72, 0x3a52, v71
	v_fma_f16 v71, v71, s14, v74
	v_add_f16_e32 v58, v76, v57
	v_add_f16_e32 v38, v36, v37
	v_sub_f16_e32 v36, v37, v36
	v_sub_f16_e32 v37, v57, v76
	v_fma_f16 v72, v65, s12, -v72
	v_add_f16_e32 v71, v71, v66
	v_add_f16_e32 v72, v72, v66
	v_sub_f16_e32 v75, v71, v45
	v_add_f16_e32 v45, v45, v71
	v_sub_f16_e32 v44, v72, v39
	s_waitcnt vmcnt(1)
	v_mul_f16_sdwa v48, v33, v50 dst_sel:DWORD dst_unused:UNUSED_PAD src0_sel:DWORD src1_sel:WORD_1
	v_fma_f16 v48, v20, v50, -v48
	s_waitcnt vmcnt(0)
	v_mul_f16_sdwa v57, v41, v29 dst_sel:DWORD dst_unused:UNUSED_PAD src0_sel:DWORD src1_sel:WORD_1
	v_mul_f16_sdwa v69, v40, v52 dst_sel:DWORD dst_unused:UNUSED_PAD src0_sel:DWORD src1_sel:WORD_1
	v_mul_f16_sdwa v73, v31, v51 dst_sel:DWORD dst_unused:UNUSED_PAD src0_sel:DWORD src1_sel:WORD_1
	v_mul_f16_sdwa v74, v42, v28 dst_sel:DWORD dst_unused:UNUSED_PAD src0_sel:DWORD src1_sel:WORD_1
	v_mul_f16_sdwa v20, v20, v50 dst_sel:DWORD dst_unused:UNUSED_PAD src0_sel:DWORD src1_sel:WORD_1
	v_fma_f16 v57, v23, v29, -v57
	v_fma_f16 v69, v21, v52, -v69
	;; [unrolled: 1-line block ×4, first 2 shown]
	v_mul_f16_sdwa v23, v23, v29 dst_sel:DWORD dst_unused:UNUSED_PAD src0_sel:DWORD src1_sel:WORD_1
	v_fma_f16 v20, v33, v50, v20
	v_mul_f16_sdwa v21, v21, v52 dst_sel:DWORD dst_unused:UNUSED_PAD src0_sel:DWORD src1_sel:WORD_1
	v_mul_f16_sdwa v33, v34, v53 dst_sel:DWORD dst_unused:UNUSED_PAD src0_sel:DWORD src1_sel:WORD_1
	;; [unrolled: 1-line block ×5, first 2 shown]
	v_fma_f16 v23, v41, v29, v23
	v_fma_f16 v21, v40, v52, v21
	;; [unrolled: 1-line block ×5, first 2 shown]
	v_fma_f16 v66, v34, v53, -v66
	v_add_f16_e32 v29, v20, v23
	v_add_f16_e32 v34, v33, v21
	;; [unrolled: 1-line block ×5, first 2 shown]
	v_sub_f16_e32 v20, v20, v23
	v_sub_f16_e32 v21, v33, v21
	;; [unrolled: 1-line block ×6, first 2 shown]
	v_add_f16_e32 v42, v29, v28
	v_add_f16_e32 v48, v66, v69
	v_add_f16_e32 v57, v43, v52
	v_sub_f16_e32 v23, v20, v21
	v_sub_f16_e32 v22, v21, v19
	v_add_f16_e32 v21, v21, v19
	v_sub_f16_e32 v19, v19, v20
	v_add_f16_e32 v39, v39, v72
	v_sub_f16_e32 v72, v65, v71
	v_sub_f16_e32 v77, v71, v76
	v_add_f16_e32 v71, v71, v76
	v_sub_f16_e32 v40, v29, v34
	;; [unrolled: 3-line block ×3, first 2 shown]
	v_sub_f16_e32 v53, v48, v52
	v_add_f16_e32 v48, v48, v57
	v_mul_f16_e32 v22, 0xb846, v22
	v_add_f16_e32 v21, v20, v21
	v_mul_f16_e32 v20, 0x3b00, v19
	v_mul_f16_e32 v77, 0xb846, v77
	v_add_f16_e32 v71, v65, v71
	v_mul_f16_e32 v41, 0x3a52, v40
	;; [unrolled: 3-line block ×3, first 2 shown]
	v_mul_f16_e32 v53, 0x2b26, v53
	v_add_f16_e32 v57, v18, v48
	v_fma_f16 v33, v23, s3, v22
	v_sub_f16_e32 v65, v76, v65
	v_sub_f16_e32 v28, v28, v29
	;; [unrolled: 1-line block ×3, first 2 shown]
	v_fma_f16 v20, v23, s11, -v20
	v_fma_f16 v19, v19, s10, -v22
	v_fma_f16 v40, v40, s14, v31
	v_fma_f16 v34, v34, s6, v32
	;; [unrolled: 1-line block ×5, first 2 shown]
	v_fma_f16 v29, v28, s12, -v41
	v_fma_f16 v51, v43, s12, -v51
	v_fma_f16 v20, v21, s2, v20
	v_fma_f16 v28, v28, s13, -v31
	v_fma_f16 v31, v65, s10, -v77
	v_fma_f16 v19, v21, s2, v19
	v_fma_f16 v21, v43, s13, -v53
	v_add_f16_e32 v48, v50, v18
	v_add_f16_e32 v51, v51, v18
	v_add_f16_e32 v28, v28, v34
	v_fma_f16 v31, v71, s2, v31
	v_add_f16_e32 v18, v21, v18
	v_add_f16_e32 v40, v40, v34
	v_add_f16_e32 v29, v29, v34
	v_sub_f16_e32 v34, v28, v31
	v_add_f16_e32 v22, v19, v18
	v_add_f16_e32 v28, v31, v28
	v_sub_f16_e32 v31, v18, v19
	v_mad_u64_u32 v[18:19], s[14:15], s8, v24, 0
	v_sub_f16_e32 v23, v51, v20
	v_add_f16_e32 v43, v20, v51
	v_mov_b32_e32 v20, v19
	v_mad_u64_u32 v[20:21], s[14:15], s9, v24, v[20:21]
	v_mov_b32_e32 v19, v20
	v_lshl_add_u64 v[18:19], v[18:19], 2, v[0:1]
	v_pack_b32_f16 v20, v57, v32
	v_add_u32_e32 v21, 0xd8, v24
	global_store_dword v[18:19], v20, off
	v_mad_u64_u32 v[18:19], s[14:15], s8, v21, 0
	v_fma_f16 v78, v72, s3, v77
	v_mov_b32_e32 v20, v19
	v_fma_f16 v78, v71, s2, v78
	v_mad_u64_u32 v[20:21], s[14:15], s9, v21, v[20:21]
	v_add_f16_e32 v42, v78, v40
	v_sub_f16_e32 v50, v48, v33
	v_sub_f16_e32 v40, v40, v78
	v_add_f16_e32 v33, v33, v48
	v_mov_b32_e32 v19, v20
	v_lshl_add_u64 v[18:19], v[18:19], 2, v[0:1]
	v_pack_b32_f16 v20, v33, v40
	v_add_u32_e32 v21, 0x1b0, v24
	v_mul_f16_e32 v66, 0x3b00, v65
	global_store_dword v[18:19], v20, off
	v_mad_u64_u32 v[18:19], s[14:15], s8, v21, 0
	v_fma_f16 v66, v72, s11, -v66
	v_mov_b32_e32 v20, v19
	v_fma_f16 v66, v71, s2, v66
	v_mad_u64_u32 v[20:21], s[14:15], s9, v21, v[20:21]
	v_add_f16_e32 v41, v66, v29
	v_sub_f16_e32 v29, v29, v66
	v_mov_b32_e32 v19, v20
	v_lshl_add_u64 v[18:19], v[18:19], 2, v[0:1]
	v_pack_b32_f16 v20, v43, v29
	v_add_u32_e32 v21, 0x288, v24
	global_store_dword v[18:19], v20, off
	v_mad_u64_u32 v[18:19], s[14:15], s8, v21, 0
	v_mov_b32_e32 v20, v19
	v_mad_u64_u32 v[20:21], s[14:15], s9, v21, v[20:21]
	v_mov_b32_e32 v19, v20
	v_lshl_add_u64 v[18:19], v[18:19], 2, v[0:1]
	v_pack_b32_f16 v20, v31, v28
	v_add_u32_e32 v21, 0x360, v24
	global_store_dword v[18:19], v20, off
	v_mad_u64_u32 v[18:19], s[14:15], s8, v21, 0
	v_mov_b32_e32 v20, v19
	v_mad_u64_u32 v[20:21], s[14:15], s9, v21, v[20:21]
	;; [unrolled: 8-line block ×4, first 2 shown]
	v_mov_b32_e32 v19, v20
	v_lshl_add_u64 v[18:19], v[18:19], 2, v[0:1]
	v_pack_b32_f16 v20, v50, v42
	global_store_dword v[18:19], v20, off
	v_mad_u64_u32 v[18:19], s[14:15], s8, v26, 0
	v_mov_b32_e32 v20, v19
	v_mad_u64_u32 v[20:21], s[14:15], s9, v26, v[20:21]
	v_mov_b32_e32 v19, v20
	v_lshl_add_u64 v[18:19], v[18:19], 2, v[0:1]
	v_pack_b32_f16 v20, v35, v30
	v_add_u32_e32 v21, 0x117, v24
	global_store_dword v[18:19], v20, off
	v_mad_u64_u32 v[18:19], s[14:15], s8, v21, 0
	v_mov_b32_e32 v20, v19
	v_mad_u64_u32 v[20:21], s[14:15], s9, v21, v[20:21]
	v_mov_b32_e32 v19, v20
	v_lshl_add_u64 v[18:19], v[18:19], 2, v[0:1]
	v_pack_b32_f16 v20, v45, v47
	v_add_u32_e32 v21, 0x1ef, v24
	;; [unrolled: 8-line block ×6, first 2 shown]
	global_store_dword v[18:19], v20, off
	v_mad_u64_u32 v[18:19], s[14:15], s8, v21, 0
	v_mov_b32_e32 v20, v19
	v_mad_u64_u32 v[20:21], s[14:15], s9, v21, v[20:21]
	v_mov_b32_e32 v19, v20
	v_lshl_add_u64 v[18:19], v[18:19], 2, v[0:1]
	v_pack_b32_f16 v20, v75, v70
	global_store_dword v[18:19], v20, off
	v_add_u32_e32 v18, 0x7e, v24
	v_lshrrev_b32_e32 v19, 3, v18
	s_mov_b32 s14, 0x97b425f
	v_mul_hi_u32 v19, v19, s14
	v_mad_u32_u24 v22, v19, s16, v18
	v_mad_u64_u32 v[18:19], s[14:15], s8, v22, 0
	v_mov_b32_e32 v20, v19
	v_mad_u64_u32 v[20:21], s[14:15], s9, v22, v[20:21]
	v_mov_b32_e32 v19, v20
	v_lshl_add_u64 v[18:19], v[18:19], 2, v[0:1]
	v_pack_b32_f16 v20, v79, v59
	v_add_u32_e32 v21, 0xd8, v22
	global_store_dword v[18:19], v20, off
	v_mad_u64_u32 v[18:19], s[14:15], s8, v21, 0
	v_mov_b32_e32 v20, v19
	v_mad_u64_u32 v[20:21], s[14:15], s9, v21, v[20:21]
	v_mov_b32_e32 v19, v20
	v_lshl_add_u64 v[18:19], v[18:19], 2, v[0:1]
	v_pack_b32_f16 v20, v61, v55
	v_add_u32_e32 v21, 0x1b0, v22
	global_store_dword v[18:19], v20, off
	;; [unrolled: 8-line block ×6, first 2 shown]
	v_mad_u64_u32 v[18:19], s[14:15], s8, v21, 0
	v_mov_b32_e32 v20, v19
	v_mad_u64_u32 v[20:21], s[14:15], s9, v21, v[20:21]
	v_mov_b32_e32 v19, v20
	v_lshl_add_u64 v[18:19], v[18:19], 2, v[0:1]
	v_pack_b32_f16 v2, v27, v2
	global_store_dword v[18:19], v2, off
	s_and_b64 exec, exec, s[0:1]
	s_cbranch_execz .LBB0_20
; %bb.19:
	v_subrev_u32_e32 v2, 27, v24
	v_cndmask_b32_e64 v2, v2, v25, s[0:1]
	v_mul_i32_i24_e32 v2, 6, v2
	v_lshl_add_u64 v[2:3], v[2:3], 2, s[4:5]
	global_load_dwordx4 v[18:21], v[2:3], off offset:856
	global_load_dwordx2 v[22:23], v[2:3], off offset:872
	s_waitcnt vmcnt(1)
	v_mul_f16_sdwa v2, v12, v18 dst_sel:DWORD dst_unused:UNUSED_PAD src0_sel:DWORD src1_sel:WORD_1
	v_mul_f16_sdwa v25, v13, v19 dst_sel:DWORD dst_unused:UNUSED_PAD src0_sel:DWORD src1_sel:WORD_1
	s_waitcnt vmcnt(0)
	v_mul_f16_sdwa v31, v16, v22 dst_sel:DWORD dst_unused:UNUSED_PAD src0_sel:DWORD src1_sel:WORD_1
	v_mul_f16_sdwa v33, v15, v23 dst_sel:DWORD dst_unused:UNUSED_PAD src0_sel:DWORD src1_sel:WORD_1
	;; [unrolled: 1-line block ×10, first 2 shown]
	v_fma_f16 v2, v4, v18, -v2
	v_fma_f16 v4, v5, v19, -v25
	;; [unrolled: 1-line block ×4, first 2 shown]
	v_fma_f16 v3, v12, v18, v3
	v_fma_f16 v5, v13, v19, v26
	v_fma_f16 v10, v10, v20, -v27
	v_fma_f16 v12, v17, v20, v28
	v_fma_f16 v7, v7, v21, -v29
	v_fma_f16 v13, v14, v21, v30
	v_fma_f16 v14, v16, v22, v32
	;; [unrolled: 1-line block ×3, first 2 shown]
	v_add_f16_e32 v16, v2, v8
	v_sub_f16_e32 v2, v2, v8
	v_add_f16_e32 v8, v4, v9
	v_add_f16_e32 v17, v3, v15
	v_sub_f16_e32 v3, v3, v15
	v_add_f16_e32 v15, v5, v14
	v_sub_f16_e32 v4, v4, v9
	v_sub_f16_e32 v5, v5, v14
	v_add_f16_e32 v9, v10, v7
	v_add_f16_e32 v14, v12, v13
	v_sub_f16_e32 v7, v7, v10
	v_sub_f16_e32 v10, v13, v12
	v_add_f16_e32 v12, v8, v16
	v_add_f16_e32 v13, v15, v17
	v_sub_f16_e32 v18, v8, v16
	v_sub_f16_e32 v16, v16, v9
	;; [unrolled: 1-line block ×3, first 2 shown]
	v_add_f16_e32 v21, v10, v5
	v_sub_f16_e32 v23, v10, v5
	v_add_f16_e32 v9, v9, v12
	v_sub_f16_e32 v19, v15, v17
	v_sub_f16_e32 v17, v17, v14
	;; [unrolled: 1-line block ×3, first 2 shown]
	v_add_f16_e32 v20, v7, v4
	v_sub_f16_e32 v22, v7, v4
	v_sub_f16_e32 v10, v3, v10
	;; [unrolled: 1-line block ×4, first 2 shown]
	v_add_f16_e32 v12, v14, v13
	v_add_f16_e32 v3, v21, v3
	v_mul_f16_e32 v13, 0x3a52, v16
	v_mul_f16_e32 v16, 0x2b26, v8
	;; [unrolled: 1-line block ×3, first 2 shown]
	v_add_f16_e32 v6, v6, v9
	v_sub_f16_e32 v7, v2, v7
	v_add_f16_e32 v2, v20, v2
	v_mul_f16_e32 v14, 0x3a52, v17
	v_mul_f16_e32 v17, 0x2b26, v15
	;; [unrolled: 1-line block ×5, first 2 shown]
	v_add_f16_e32 v11, v11, v12
	v_fma_f16 v16, v18, s13, -v16
	v_fma_f16 v5, v5, s10, -v21
	v_fma_f16 v9, v9, s6, v6
	v_fma_f16 v8, v8, s7, v13
	;; [unrolled: 1-line block ×3, first 2 shown]
	v_fma_f16 v17, v19, s13, -v17
	v_fma_f16 v13, v18, s12, -v13
	;; [unrolled: 1-line block ×3, first 2 shown]
	v_fma_f16 v18, v7, s3, v20
	v_fma_f16 v19, v10, s3, v21
	v_fma_f16 v4, v4, s10, -v20
	v_fma_f16 v7, v7, s11, -v22
	;; [unrolled: 1-line block ×3, first 2 shown]
	v_fma_f16 v12, v12, s6, v11
	v_add_f16_e32 v16, v16, v9
	v_fma_f16 v5, v3, s2, v5
	v_add_f16_e32 v8, v8, v9
	v_add_f16_e32 v15, v15, v12
	;; [unrolled: 1-line block ×5, first 2 shown]
	v_fma_f16 v13, v2, s2, v18
	v_fma_f16 v14, v3, s2, v19
	;; [unrolled: 1-line block ×5, first 2 shown]
	v_sub_f16_e32 v20, v16, v5
	v_add_f16_e32 v16, v5, v16
	v_add_u32_e32 v5, 0xbd, v24
	v_add_f16_e32 v18, v3, v9
	v_sub_f16_e32 v19, v12, v2
	v_sub_f16_e32 v9, v9, v3
	v_add_f16_e32 v12, v2, v12
	v_mad_u64_u32 v[2:3], s[0:1], s8, v5, 0
	v_add_f16_e32 v21, v4, v17
	v_sub_f16_e32 v17, v17, v4
	v_mov_b32_e32 v4, v3
	v_mad_u64_u32 v[4:5], s[0:1], s9, v5, v[4:5]
	v_mov_b32_e32 v3, v4
	v_lshl_add_u64 v[2:3], v[2:3], 2, v[0:1]
	v_pack_b32_f16 v4, v6, v11
	v_add_u32_e32 v5, 0x195, v24
	global_store_dword v[2:3], v4, off
	v_mad_u64_u32 v[2:3], s[0:1], s8, v5, 0
	v_mov_b32_e32 v4, v3
	v_mad_u64_u32 v[4:5], s[0:1], s9, v5, v[4:5]
	v_add_f16_e32 v7, v14, v8
	v_sub_f16_e32 v10, v15, v13
	v_mov_b32_e32 v3, v4
	v_lshl_add_u64 v[2:3], v[2:3], 2, v[0:1]
	v_pack_b32_f16 v4, v7, v10
	v_add_u32_e32 v5, 0x26d, v24
	global_store_dword v[2:3], v4, off
	v_mad_u64_u32 v[2:3], s[0:1], s8, v5, 0
	v_mov_b32_e32 v4, v3
	v_mad_u64_u32 v[4:5], s[0:1], s9, v5, v[4:5]
	v_mov_b32_e32 v3, v4
	v_lshl_add_u64 v[2:3], v[2:3], 2, v[0:1]
	v_pack_b32_f16 v4, v18, v19
	v_add_u32_e32 v5, 0x345, v24
	global_store_dword v[2:3], v4, off
	v_mad_u64_u32 v[2:3], s[0:1], s8, v5, 0
	v_mov_b32_e32 v4, v3
	v_mad_u64_u32 v[4:5], s[0:1], s9, v5, v[4:5]
	;; [unrolled: 8-line block ×5, first 2 shown]
	v_sub_f16_e32 v8, v8, v14
	v_add_f16_e32 v13, v13, v15
	v_mov_b32_e32 v3, v4
	v_lshl_add_u64 v[0:1], v[2:3], 2, v[0:1]
	v_pack_b32_f16 v2, v8, v13
	global_store_dword v[0:1], v2, off
.LBB0_20:
	s_endpgm
	.section	.rodata,"a",@progbits
	.p2align	6, 0x0
	.amdhsa_kernel fft_rtc_fwd_len1512_factors_2_2_2_3_3_3_7_wgs_63_tpt_63_halfLds_half_ip_CI_sbrr_dirReg
		.amdhsa_group_segment_fixed_size 0
		.amdhsa_private_segment_fixed_size 0
		.amdhsa_kernarg_size 88
		.amdhsa_user_sgpr_count 2
		.amdhsa_user_sgpr_dispatch_ptr 0
		.amdhsa_user_sgpr_queue_ptr 0
		.amdhsa_user_sgpr_kernarg_segment_ptr 1
		.amdhsa_user_sgpr_dispatch_id 0
		.amdhsa_user_sgpr_kernarg_preload_length 0
		.amdhsa_user_sgpr_kernarg_preload_offset 0
		.amdhsa_user_sgpr_private_segment_size 0
		.amdhsa_uses_dynamic_stack 0
		.amdhsa_enable_private_segment 0
		.amdhsa_system_sgpr_workgroup_id_x 1
		.amdhsa_system_sgpr_workgroup_id_y 0
		.amdhsa_system_sgpr_workgroup_id_z 0
		.amdhsa_system_sgpr_workgroup_info 0
		.amdhsa_system_vgpr_workitem_id 0
		.amdhsa_next_free_vgpr 102
		.amdhsa_next_free_sgpr 24
		.amdhsa_accum_offset 104
		.amdhsa_reserve_vcc 1
		.amdhsa_float_round_mode_32 0
		.amdhsa_float_round_mode_16_64 0
		.amdhsa_float_denorm_mode_32 3
		.amdhsa_float_denorm_mode_16_64 3
		.amdhsa_dx10_clamp 1
		.amdhsa_ieee_mode 1
		.amdhsa_fp16_overflow 0
		.amdhsa_tg_split 0
		.amdhsa_exception_fp_ieee_invalid_op 0
		.amdhsa_exception_fp_denorm_src 0
		.amdhsa_exception_fp_ieee_div_zero 0
		.amdhsa_exception_fp_ieee_overflow 0
		.amdhsa_exception_fp_ieee_underflow 0
		.amdhsa_exception_fp_ieee_inexact 0
		.amdhsa_exception_int_div_zero 0
	.end_amdhsa_kernel
	.text
.Lfunc_end0:
	.size	fft_rtc_fwd_len1512_factors_2_2_2_3_3_3_7_wgs_63_tpt_63_halfLds_half_ip_CI_sbrr_dirReg, .Lfunc_end0-fft_rtc_fwd_len1512_factors_2_2_2_3_3_3_7_wgs_63_tpt_63_halfLds_half_ip_CI_sbrr_dirReg
                                        ; -- End function
	.section	.AMDGPU.csdata,"",@progbits
; Kernel info:
; codeLenInByte = 19320
; NumSgprs: 30
; NumVgprs: 102
; NumAgprs: 0
; TotalNumVgprs: 102
; ScratchSize: 0
; MemoryBound: 0
; FloatMode: 240
; IeeeMode: 1
; LDSByteSize: 0 bytes/workgroup (compile time only)
; SGPRBlocks: 3
; VGPRBlocks: 12
; NumSGPRsForWavesPerEU: 30
; NumVGPRsForWavesPerEU: 102
; AccumOffset: 104
; Occupancy: 4
; WaveLimiterHint : 1
; COMPUTE_PGM_RSRC2:SCRATCH_EN: 0
; COMPUTE_PGM_RSRC2:USER_SGPR: 2
; COMPUTE_PGM_RSRC2:TRAP_HANDLER: 0
; COMPUTE_PGM_RSRC2:TGID_X_EN: 1
; COMPUTE_PGM_RSRC2:TGID_Y_EN: 0
; COMPUTE_PGM_RSRC2:TGID_Z_EN: 0
; COMPUTE_PGM_RSRC2:TIDIG_COMP_CNT: 0
; COMPUTE_PGM_RSRC3_GFX90A:ACCUM_OFFSET: 25
; COMPUTE_PGM_RSRC3_GFX90A:TG_SPLIT: 0
	.text
	.p2alignl 6, 3212836864
	.fill 256, 4, 3212836864
	.type	__hip_cuid_2167606cf423a0d4,@object ; @__hip_cuid_2167606cf423a0d4
	.section	.bss,"aw",@nobits
	.globl	__hip_cuid_2167606cf423a0d4
__hip_cuid_2167606cf423a0d4:
	.byte	0                               ; 0x0
	.size	__hip_cuid_2167606cf423a0d4, 1

	.ident	"AMD clang version 19.0.0git (https://github.com/RadeonOpenCompute/llvm-project roc-6.4.0 25133 c7fe45cf4b819c5991fe208aaa96edf142730f1d)"
	.section	".note.GNU-stack","",@progbits
	.addrsig
	.addrsig_sym __hip_cuid_2167606cf423a0d4
	.amdgpu_metadata
---
amdhsa.kernels:
  - .agpr_count:     0
    .args:
      - .actual_access:  read_only
        .address_space:  global
        .offset:         0
        .size:           8
        .value_kind:     global_buffer
      - .offset:         8
        .size:           8
        .value_kind:     by_value
      - .actual_access:  read_only
        .address_space:  global
        .offset:         16
        .size:           8
        .value_kind:     global_buffer
      - .actual_access:  read_only
        .address_space:  global
        .offset:         24
        .size:           8
        .value_kind:     global_buffer
      - .offset:         32
        .size:           8
        .value_kind:     by_value
      - .actual_access:  read_only
        .address_space:  global
        .offset:         40
        .size:           8
        .value_kind:     global_buffer
      - .actual_access:  read_only
        .address_space:  global
        .offset:         48
        .size:           8
        .value_kind:     global_buffer
      - .offset:         56
        .size:           4
        .value_kind:     by_value
      - .actual_access:  read_only
        .address_space:  global
        .offset:         64
        .size:           8
        .value_kind:     global_buffer
      - .actual_access:  read_only
        .address_space:  global
        .offset:         72
        .size:           8
        .value_kind:     global_buffer
      - .address_space:  global
        .offset:         80
        .size:           8
        .value_kind:     global_buffer
    .group_segment_fixed_size: 0
    .kernarg_segment_align: 8
    .kernarg_segment_size: 88
    .language:       OpenCL C
    .language_version:
      - 2
      - 0
    .max_flat_workgroup_size: 63
    .name:           fft_rtc_fwd_len1512_factors_2_2_2_3_3_3_7_wgs_63_tpt_63_halfLds_half_ip_CI_sbrr_dirReg
    .private_segment_fixed_size: 0
    .sgpr_count:     30
    .sgpr_spill_count: 0
    .symbol:         fft_rtc_fwd_len1512_factors_2_2_2_3_3_3_7_wgs_63_tpt_63_halfLds_half_ip_CI_sbrr_dirReg.kd
    .uniform_work_group_size: 1
    .uses_dynamic_stack: false
    .vgpr_count:     102
    .vgpr_spill_count: 0
    .wavefront_size: 64
amdhsa.target:   amdgcn-amd-amdhsa--gfx950
amdhsa.version:
  - 1
  - 2
...

	.end_amdgpu_metadata
